;; amdgpu-corpus repo=ROCm/rocFFT kind=compiled arch=gfx1030 opt=O3
	.text
	.amdgcn_target "amdgcn-amd-amdhsa--gfx1030"
	.amdhsa_code_object_version 6
	.protected	fft_rtc_fwd_len1650_factors_11_2_3_5_5_wgs_110_tpt_110_halfLds_half_op_CI_CI_unitstride_sbrr_C2R_dirReg ; -- Begin function fft_rtc_fwd_len1650_factors_11_2_3_5_5_wgs_110_tpt_110_halfLds_half_op_CI_CI_unitstride_sbrr_C2R_dirReg
	.globl	fft_rtc_fwd_len1650_factors_11_2_3_5_5_wgs_110_tpt_110_halfLds_half_op_CI_CI_unitstride_sbrr_C2R_dirReg
	.p2align	8
	.type	fft_rtc_fwd_len1650_factors_11_2_3_5_5_wgs_110_tpt_110_halfLds_half_op_CI_CI_unitstride_sbrr_C2R_dirReg,@function
fft_rtc_fwd_len1650_factors_11_2_3_5_5_wgs_110_tpt_110_halfLds_half_op_CI_CI_unitstride_sbrr_C2R_dirReg: ; @fft_rtc_fwd_len1650_factors_11_2_3_5_5_wgs_110_tpt_110_halfLds_half_op_CI_CI_unitstride_sbrr_C2R_dirReg
; %bb.0:
	s_clause 0x2
	s_load_dwordx4 s[12:15], s[4:5], 0x0
	s_load_dwordx4 s[8:11], s[4:5], 0x58
	;; [unrolled: 1-line block ×3, first 2 shown]
	v_mul_u32_u24_e32 v1, 0x254, v0
	v_mov_b32_e32 v3, 0
	v_mov_b32_e32 v7, 0
	;; [unrolled: 1-line block ×3, first 2 shown]
	v_add_nc_u32_sdwa v9, s6, v1 dst_sel:DWORD dst_unused:UNUSED_PAD src0_sel:DWORD src1_sel:WORD_1
	v_mov_b32_e32 v10, v3
	s_waitcnt lgkmcnt(0)
	v_cmp_lt_u64_e64 s0, s[14:15], 2
	s_and_b32 vcc_lo, exec_lo, s0
	s_cbranch_vccnz .LBB0_8
; %bb.1:
	s_load_dwordx2 s[0:1], s[4:5], 0x10
	v_mov_b32_e32 v7, 0
	v_mov_b32_e32 v8, 0
	s_add_u32 s2, s18, 8
	s_addc_u32 s3, s19, 0
	v_mov_b32_e32 v1, v7
	s_add_u32 s6, s16, 8
	v_mov_b32_e32 v2, v8
	s_addc_u32 s7, s17, 0
	s_mov_b64 s[22:23], 1
	s_waitcnt lgkmcnt(0)
	s_add_u32 s20, s0, 8
	s_addc_u32 s21, s1, 0
.LBB0_2:                                ; =>This Inner Loop Header: Depth=1
	s_load_dwordx2 s[24:25], s[20:21], 0x0
                                        ; implicit-def: $vgpr5_vgpr6
	s_mov_b32 s0, exec_lo
	s_waitcnt lgkmcnt(0)
	v_or_b32_e32 v4, s25, v10
	v_cmpx_ne_u64_e32 0, v[3:4]
	s_xor_b32 s1, exec_lo, s0
	s_cbranch_execz .LBB0_4
; %bb.3:                                ;   in Loop: Header=BB0_2 Depth=1
	v_cvt_f32_u32_e32 v4, s24
	v_cvt_f32_u32_e32 v5, s25
	s_sub_u32 s0, 0, s24
	s_subb_u32 s26, 0, s25
	v_fmac_f32_e32 v4, 0x4f800000, v5
	v_rcp_f32_e32 v4, v4
	v_mul_f32_e32 v4, 0x5f7ffffc, v4
	v_mul_f32_e32 v5, 0x2f800000, v4
	v_trunc_f32_e32 v5, v5
	v_fmac_f32_e32 v4, 0xcf800000, v5
	v_cvt_u32_f32_e32 v5, v5
	v_cvt_u32_f32_e32 v4, v4
	v_mul_lo_u32 v6, s0, v5
	v_mul_hi_u32 v11, s0, v4
	v_mul_lo_u32 v12, s26, v4
	v_add_nc_u32_e32 v6, v11, v6
	v_mul_lo_u32 v11, s0, v4
	v_add_nc_u32_e32 v6, v6, v12
	v_mul_hi_u32 v12, v4, v11
	v_mul_lo_u32 v13, v4, v6
	v_mul_hi_u32 v14, v4, v6
	v_mul_hi_u32 v15, v5, v11
	v_mul_lo_u32 v11, v5, v11
	v_mul_hi_u32 v16, v5, v6
	v_mul_lo_u32 v6, v5, v6
	v_add_co_u32 v12, vcc_lo, v12, v13
	v_add_co_ci_u32_e32 v13, vcc_lo, 0, v14, vcc_lo
	v_add_co_u32 v11, vcc_lo, v12, v11
	v_add_co_ci_u32_e32 v11, vcc_lo, v13, v15, vcc_lo
	v_add_co_ci_u32_e32 v12, vcc_lo, 0, v16, vcc_lo
	v_add_co_u32 v6, vcc_lo, v11, v6
	v_add_co_ci_u32_e32 v11, vcc_lo, 0, v12, vcc_lo
	v_add_co_u32 v4, vcc_lo, v4, v6
	v_add_co_ci_u32_e32 v5, vcc_lo, v5, v11, vcc_lo
	v_mul_hi_u32 v6, s0, v4
	v_mul_lo_u32 v12, s26, v4
	v_mul_lo_u32 v11, s0, v5
	v_add_nc_u32_e32 v6, v6, v11
	v_mul_lo_u32 v11, s0, v4
	v_add_nc_u32_e32 v6, v6, v12
	v_mul_hi_u32 v12, v4, v11
	v_mul_lo_u32 v13, v4, v6
	v_mul_hi_u32 v14, v4, v6
	v_mul_hi_u32 v15, v5, v11
	v_mul_lo_u32 v11, v5, v11
	v_mul_hi_u32 v16, v5, v6
	v_mul_lo_u32 v6, v5, v6
	v_add_co_u32 v12, vcc_lo, v12, v13
	v_add_co_ci_u32_e32 v13, vcc_lo, 0, v14, vcc_lo
	v_add_co_u32 v11, vcc_lo, v12, v11
	v_add_co_ci_u32_e32 v11, vcc_lo, v13, v15, vcc_lo
	v_add_co_ci_u32_e32 v12, vcc_lo, 0, v16, vcc_lo
	v_add_co_u32 v6, vcc_lo, v11, v6
	v_add_co_ci_u32_e32 v11, vcc_lo, 0, v12, vcc_lo
	v_add_co_u32 v6, vcc_lo, v4, v6
	v_add_co_ci_u32_e32 v13, vcc_lo, v5, v11, vcc_lo
	v_mul_hi_u32 v15, v9, v6
	v_mad_u64_u32 v[11:12], null, v10, v6, 0
	v_mad_u64_u32 v[4:5], null, v9, v13, 0
	;; [unrolled: 1-line block ×3, first 2 shown]
	v_add_co_u32 v4, vcc_lo, v15, v4
	v_add_co_ci_u32_e32 v5, vcc_lo, 0, v5, vcc_lo
	v_add_co_u32 v4, vcc_lo, v4, v11
	v_add_co_ci_u32_e32 v4, vcc_lo, v5, v12, vcc_lo
	v_add_co_ci_u32_e32 v5, vcc_lo, 0, v14, vcc_lo
	v_add_co_u32 v11, vcc_lo, v4, v13
	v_add_co_ci_u32_e32 v6, vcc_lo, 0, v5, vcc_lo
	v_mul_lo_u32 v12, s25, v11
	v_mad_u64_u32 v[4:5], null, s24, v11, 0
	v_mul_lo_u32 v13, s24, v6
	v_sub_co_u32 v4, vcc_lo, v9, v4
	v_add3_u32 v5, v5, v13, v12
	v_sub_nc_u32_e32 v12, v10, v5
	v_subrev_co_ci_u32_e64 v12, s0, s25, v12, vcc_lo
	v_add_co_u32 v13, s0, v11, 2
	v_add_co_ci_u32_e64 v14, s0, 0, v6, s0
	v_sub_co_u32 v15, s0, v4, s24
	v_sub_co_ci_u32_e32 v5, vcc_lo, v10, v5, vcc_lo
	v_subrev_co_ci_u32_e64 v12, s0, 0, v12, s0
	v_cmp_le_u32_e32 vcc_lo, s24, v15
	v_cmp_eq_u32_e64 s0, s25, v5
	v_cndmask_b32_e64 v15, 0, -1, vcc_lo
	v_cmp_le_u32_e32 vcc_lo, s25, v12
	v_cndmask_b32_e64 v16, 0, -1, vcc_lo
	v_cmp_le_u32_e32 vcc_lo, s24, v4
	;; [unrolled: 2-line block ×3, first 2 shown]
	v_cndmask_b32_e64 v17, 0, -1, vcc_lo
	v_cmp_eq_u32_e32 vcc_lo, s25, v12
	v_cndmask_b32_e64 v4, v17, v4, s0
	v_cndmask_b32_e32 v12, v16, v15, vcc_lo
	v_add_co_u32 v15, vcc_lo, v11, 1
	v_add_co_ci_u32_e32 v16, vcc_lo, 0, v6, vcc_lo
	v_cmp_ne_u32_e32 vcc_lo, 0, v12
	v_cndmask_b32_e32 v5, v16, v14, vcc_lo
	v_cndmask_b32_e32 v12, v15, v13, vcc_lo
	v_cmp_ne_u32_e32 vcc_lo, 0, v4
	v_cndmask_b32_e32 v6, v6, v5, vcc_lo
	v_cndmask_b32_e32 v5, v11, v12, vcc_lo
.LBB0_4:                                ;   in Loop: Header=BB0_2 Depth=1
	s_andn2_saveexec_b32 s0, s1
	s_cbranch_execz .LBB0_6
; %bb.5:                                ;   in Loop: Header=BB0_2 Depth=1
	v_cvt_f32_u32_e32 v4, s24
	s_sub_i32 s1, 0, s24
	v_rcp_iflag_f32_e32 v4, v4
	v_mul_f32_e32 v4, 0x4f7ffffe, v4
	v_cvt_u32_f32_e32 v4, v4
	v_mul_lo_u32 v5, s1, v4
	v_mul_hi_u32 v5, v4, v5
	v_add_nc_u32_e32 v4, v4, v5
	v_mul_hi_u32 v4, v9, v4
	v_mul_lo_u32 v5, v4, s24
	v_add_nc_u32_e32 v6, 1, v4
	v_sub_nc_u32_e32 v5, v9, v5
	v_subrev_nc_u32_e32 v11, s24, v5
	v_cmp_le_u32_e32 vcc_lo, s24, v5
	v_cndmask_b32_e32 v5, v5, v11, vcc_lo
	v_cndmask_b32_e32 v4, v4, v6, vcc_lo
	v_cmp_le_u32_e32 vcc_lo, s24, v5
	v_add_nc_u32_e32 v6, 1, v4
	v_cndmask_b32_e32 v5, v4, v6, vcc_lo
	v_mov_b32_e32 v6, v3
.LBB0_6:                                ;   in Loop: Header=BB0_2 Depth=1
	s_or_b32 exec_lo, exec_lo, s0
	v_mul_lo_u32 v4, v6, s24
	v_mul_lo_u32 v13, v5, s25
	s_load_dwordx2 s[0:1], s[6:7], 0x0
	v_mad_u64_u32 v[11:12], null, v5, s24, 0
	s_load_dwordx2 s[24:25], s[2:3], 0x0
	s_add_u32 s22, s22, 1
	s_addc_u32 s23, s23, 0
	s_add_u32 s2, s2, 8
	s_addc_u32 s3, s3, 0
	s_add_u32 s6, s6, 8
	v_add3_u32 v4, v12, v13, v4
	v_sub_co_u32 v9, vcc_lo, v9, v11
	s_addc_u32 s7, s7, 0
	s_add_u32 s20, s20, 8
	v_sub_co_ci_u32_e32 v4, vcc_lo, v10, v4, vcc_lo
	s_addc_u32 s21, s21, 0
	s_waitcnt lgkmcnt(0)
	v_mul_lo_u32 v10, s0, v4
	v_mul_lo_u32 v11, s1, v9
	v_mad_u64_u32 v[7:8], null, s0, v9, v[7:8]
	v_mul_lo_u32 v4, s24, v4
	v_mul_lo_u32 v12, s25, v9
	v_mad_u64_u32 v[1:2], null, s24, v9, v[1:2]
	v_cmp_ge_u64_e64 s0, s[22:23], s[14:15]
	v_add3_u32 v8, v11, v8, v10
	v_add3_u32 v2, v12, v2, v4
	s_and_b32 vcc_lo, exec_lo, s0
	s_cbranch_vccnz .LBB0_9
; %bb.7:                                ;   in Loop: Header=BB0_2 Depth=1
	v_mov_b32_e32 v10, v6
	v_mov_b32_e32 v9, v5
	s_branch .LBB0_2
.LBB0_8:
	v_mov_b32_e32 v1, v7
	v_mov_b32_e32 v5, v9
	;; [unrolled: 1-line block ×4, first 2 shown]
.LBB0_9:
	s_load_dwordx2 s[0:1], s[4:5], 0x28
	v_mul_hi_u32 v4, 0x253c826, v0
	s_lshl_b64 s[4:5], s[14:15], 3
                                        ; implicit-def: $vgpr3
	s_add_u32 s2, s18, s4
	s_addc_u32 s3, s19, s5
	s_waitcnt lgkmcnt(0)
	v_cmp_gt_u64_e32 vcc_lo, s[0:1], v[5:6]
	v_cmp_le_u64_e64 s0, s[0:1], v[5:6]
	s_and_saveexec_b32 s1, s0
	s_xor_b32 s0, exec_lo, s1
; %bb.10:
	v_mul_u32_u24_e32 v3, 0x6e, v4
                                        ; implicit-def: $vgpr4
                                        ; implicit-def: $vgpr7_vgpr8
	v_sub_nc_u32_e32 v3, v0, v3
                                        ; implicit-def: $vgpr0
; %bb.11:
	s_or_saveexec_b32 s1, s0
	s_load_dwordx2 s[2:3], s[2:3], 0x0
	s_xor_b32 exec_lo, exec_lo, s1
	s_cbranch_execz .LBB0_15
; %bb.12:
	s_add_u32 s4, s16, s4
	s_addc_u32 s5, s17, s5
	v_lshlrev_b64 v[7:8], 2, v[7:8]
	s_load_dwordx2 s[4:5], s[4:5], 0x0
	s_waitcnt lgkmcnt(0)
	v_mul_lo_u32 v3, s5, v5
	v_mul_lo_u32 v11, s4, v6
	v_mad_u64_u32 v[9:10], null, s4, v5, 0
	s_mov_b32 s4, exec_lo
	v_add3_u32 v10, v10, v11, v3
	v_mul_u32_u24_e32 v3, 0x6e, v4
	v_lshlrev_b64 v[9:10], 2, v[9:10]
	v_sub_nc_u32_e32 v3, v0, v3
	v_lshlrev_b32_e32 v15, 2, v3
	v_add_co_u32 v0, s0, s8, v9
	v_add_co_ci_u32_e64 v4, s0, s9, v10, s0
	v_add_co_u32 v0, s0, v0, v7
	v_add_co_ci_u32_e64 v4, s0, v4, v8, s0
	;; [unrolled: 2-line block ×6, first 2 shown]
	s_clause 0xe
	global_load_dword v16, v[7:8], off
	global_load_dword v17, v[7:8], off offset:440
	global_load_dword v18, v[7:8], off offset:880
	;; [unrolled: 1-line block ×14, first 2 shown]
	v_add_nc_u32_e32 v13, 0, v15
	v_add_nc_u32_e32 v14, 0x200, v13
	v_add_nc_u32_e32 v15, 0x600, v13
	v_add_nc_u32_e32 v25, 0xa00, v13
	v_add_nc_u32_e32 v26, 0xc00, v13
	v_add_nc_u32_e32 v27, 0x1000, v13
	v_add_nc_u32_e32 v28, 0x1400, v13
	s_waitcnt vmcnt(13)
	ds_write2_b32 v13, v16, v17 offset1:110
	s_waitcnt vmcnt(11)
	ds_write2_b32 v14, v18, v19 offset0:92 offset1:202
	s_waitcnt vmcnt(9)
	ds_write2_b32 v15, v7, v8 offset0:56 offset1:166
	;; [unrolled: 2-line block ×6, first 2 shown]
	s_waitcnt vmcnt(0)
	ds_write_b32 v13, v12 offset:6160
	v_cmpx_eq_u32_e32 0x6d, v3
	s_cbranch_execz .LBB0_14
; %bb.13:
	v_add_co_u32 v3, s0, 0x1800, v0
	v_add_co_ci_u32_e64 v4, s0, 0, v4, s0
	global_load_dword v0, v[3:4], off offset:456
	v_mov_b32_e32 v4, 0
	v_mov_b32_e32 v3, 0x6d
	s_waitcnt vmcnt(0)
	ds_write_b32 v4, v0 offset:6600
.LBB0_14:
	s_or_b32 exec_lo, exec_lo, s4
.LBB0_15:
	s_or_b32 exec_lo, exec_lo, s1
	v_lshlrev_b32_e32 v7, 2, v3
	s_waitcnt lgkmcnt(0)
	s_barrier
	buffer_gl0_inv
	s_add_u32 s1, s12, 0x199c
	v_add_nc_u32_e32 v0, 0, v7
	v_sub_nc_u32_e32 v10, 0, v7
	s_addc_u32 s4, s13, 0
	s_mov_b32 s5, exec_lo
                                        ; implicit-def: $vgpr8_vgpr9
	ds_read_u16 v13, v0
	ds_read_u16 v14, v10 offset:6600
	s_waitcnt lgkmcnt(0)
	v_add_f16_e32 v12, v14, v13
	v_sub_f16_e32 v11, v13, v14
	v_cmpx_ne_u32_e32 0, v3
	s_xor_b32 s5, exec_lo, s5
	s_cbranch_execz .LBB0_17
; %bb.16:
	v_mov_b32_e32 v4, 0
	v_add_f16_e32 v12, v14, v13
	v_sub_f16_e32 v13, v13, v14
	v_lshlrev_b64 v[8:9], 2, v[3:4]
	v_add_co_u32 v8, s0, s1, v8
	v_add_co_ci_u32_e64 v9, s0, s4, v9, s0
	global_load_dword v8, v[8:9], off
	ds_read_u16 v9, v10 offset:6602
	ds_read_u16 v11, v0 offset:2
	s_waitcnt lgkmcnt(0)
	v_add_f16_e32 v14, v9, v11
	v_sub_f16_e32 v9, v11, v9
	s_waitcnt vmcnt(0)
	v_lshrrev_b32_e32 v15, 16, v8
	v_fma_f16 v16, -v13, v15, v12
	v_fma_f16 v17, v14, v15, -v9
	v_fma_f16 v11, v14, v15, v9
	v_fma_f16 v12, v13, v15, v12
	v_fmac_f16_e32 v16, v8, v14
	v_fmac_f16_e32 v17, v13, v8
	;; [unrolled: 1-line block ×3, first 2 shown]
	v_fma_f16 v12, -v8, v14, v12
	v_mov_b32_e32 v9, v4
	v_mov_b32_e32 v8, v3
	v_pack_b32_f16 v13, v16, v17
	ds_write_b32 v10, v13 offset:6600
.LBB0_17:
	s_andn2_saveexec_b32 s0, s5
	s_cbranch_execz .LBB0_19
; %bb.18:
	v_mov_b32_e32 v4, 0
	ds_read_b32 v8, v4 offset:3300
	s_waitcnt lgkmcnt(0)
	v_pk_mul_f16 v13, 0xc0004000, v8
	v_mov_b32_e32 v8, 0
	v_mov_b32_e32 v9, 0
	ds_write_b32 v4, v13 offset:3300
.LBB0_19:
	s_or_b32 exec_lo, exec_lo, s0
	v_lshlrev_b64 v[8:9], 2, v[8:9]
	v_perm_b32 v11, v11, v12, 0x5040100
	v_add_co_u32 v8, s0, s1, v8
	v_add_co_ci_u32_e64 v9, s0, s4, v9, s0
	s_clause 0x3
	global_load_dword v4, v[8:9], off offset:440
	global_load_dword v13, v[8:9], off offset:880
	;; [unrolled: 1-line block ×4, first 2 shown]
	v_add_co_u32 v8, s0, 0x800, v8
	v_add_co_ci_u32_e64 v9, s0, 0, v9, s0
	v_cmp_gt_u32_e64 s0, 55, v3
	s_clause 0x1
	global_load_dword v16, v[8:9], off offset:152
	global_load_dword v17, v[8:9], off offset:592
	ds_write_b32 v0, v11
	ds_read_b32 v11, v0 offset:440
	ds_read_b32 v12, v10 offset:6160
	s_waitcnt lgkmcnt(0)
	v_add_f16_e32 v18, v11, v12
	v_add_f16_sdwa v19, v12, v11 dst_sel:DWORD dst_unused:UNUSED_PAD src0_sel:WORD_1 src1_sel:WORD_1
	v_sub_f16_e32 v20, v11, v12
	v_sub_f16_sdwa v11, v11, v12 dst_sel:DWORD dst_unused:UNUSED_PAD src0_sel:WORD_1 src1_sel:WORD_1
	s_waitcnt vmcnt(5)
	v_lshrrev_b32_e32 v21, 16, v4
	v_fma_f16 v12, v20, v21, v18
	v_fma_f16 v22, v19, v21, v11
	v_fma_f16 v18, -v20, v21, v18
	v_fma_f16 v11, v19, v21, -v11
	v_fma_f16 v12, -v4, v19, v12
	v_fmac_f16_e32 v22, v20, v4
	v_fmac_f16_e32 v18, v4, v19
	;; [unrolled: 1-line block ×3, first 2 shown]
	v_pack_b32_f16 v4, v12, v22
	s_waitcnt vmcnt(4)
	v_lshrrev_b32_e32 v12, 16, v13
	v_pack_b32_f16 v11, v18, v11
	ds_write_b32 v0, v4 offset:440
	ds_write_b32 v10, v11 offset:6160
	ds_read_b32 v4, v0 offset:880
	ds_read_b32 v11, v10 offset:5720
	s_waitcnt lgkmcnt(0)
	v_add_f16_e32 v18, v4, v11
	v_add_f16_sdwa v19, v11, v4 dst_sel:DWORD dst_unused:UNUSED_PAD src0_sel:WORD_1 src1_sel:WORD_1
	v_sub_f16_e32 v20, v4, v11
	v_sub_f16_sdwa v4, v4, v11 dst_sel:DWORD dst_unused:UNUSED_PAD src0_sel:WORD_1 src1_sel:WORD_1
	v_fma_f16 v11, v20, v12, v18
	v_fma_f16 v21, v19, v12, v4
	v_fma_f16 v18, -v20, v12, v18
	v_fma_f16 v4, v19, v12, -v4
	s_waitcnt vmcnt(3)
	v_lshrrev_b32_e32 v12, 16, v14
	v_fma_f16 v11, -v13, v19, v11
	v_fmac_f16_e32 v21, v20, v13
	v_fmac_f16_e32 v18, v13, v19
	v_fmac_f16_e32 v4, v20, v13
	v_pack_b32_f16 v11, v11, v21
	v_pack_b32_f16 v4, v18, v4
	ds_write_b32 v0, v11 offset:880
	ds_write_b32 v10, v4 offset:5720
	ds_read_b32 v4, v0 offset:1320
	ds_read_b32 v11, v10 offset:5280
	s_waitcnt lgkmcnt(0)
	v_add_f16_e32 v13, v4, v11
	v_add_f16_sdwa v18, v11, v4 dst_sel:DWORD dst_unused:UNUSED_PAD src0_sel:WORD_1 src1_sel:WORD_1
	v_sub_f16_e32 v19, v4, v11
	v_sub_f16_sdwa v4, v4, v11 dst_sel:DWORD dst_unused:UNUSED_PAD src0_sel:WORD_1 src1_sel:WORD_1
	v_fma_f16 v11, v19, v12, v13
	v_fma_f16 v20, v18, v12, v4
	v_fma_f16 v13, -v19, v12, v13
	v_fma_f16 v4, v18, v12, -v4
	s_waitcnt vmcnt(2)
	v_lshrrev_b32_e32 v12, 16, v15
	v_fma_f16 v11, -v14, v18, v11
	v_fmac_f16_e32 v20, v19, v14
	v_fmac_f16_e32 v13, v14, v18
	v_fmac_f16_e32 v4, v19, v14
	v_pack_b32_f16 v11, v11, v20
	;; [unrolled: 21-line block ×4, first 2 shown]
	v_pack_b32_f16 v4, v13, v4
	ds_write_b32 v0, v11 offset:2200
	ds_write_b32 v10, v4 offset:4400
	ds_read_b32 v4, v0 offset:2640
	ds_read_b32 v11, v10 offset:3960
	s_waitcnt lgkmcnt(0)
	v_add_f16_e32 v13, v4, v11
	v_add_f16_sdwa v14, v11, v4 dst_sel:DWORD dst_unused:UNUSED_PAD src0_sel:WORD_1 src1_sel:WORD_1
	v_sub_f16_e32 v15, v4, v11
	v_sub_f16_sdwa v4, v4, v11 dst_sel:DWORD dst_unused:UNUSED_PAD src0_sel:WORD_1 src1_sel:WORD_1
	v_fma_f16 v11, v15, v12, v13
	v_fma_f16 v16, v14, v12, v4
	v_fma_f16 v13, -v15, v12, v13
	v_fma_f16 v4, v14, v12, -v4
	v_fma_f16 v11, -v17, v14, v11
	v_fmac_f16_e32 v16, v15, v17
	v_fmac_f16_e32 v13, v17, v14
	;; [unrolled: 1-line block ×3, first 2 shown]
	v_pack_b32_f16 v11, v11, v16
	v_pack_b32_f16 v4, v13, v4
	ds_write_b32 v0, v11 offset:2640
	ds_write_b32 v10, v4 offset:3960
	s_and_saveexec_b32 s1, s0
	s_cbranch_execz .LBB0_21
; %bb.20:
	global_load_dword v4, v[8:9], off offset:1032
	ds_read_b32 v8, v0 offset:3080
	ds_read_b32 v9, v10 offset:3520
	s_waitcnt lgkmcnt(0)
	v_add_f16_e32 v11, v8, v9
	v_add_f16_sdwa v12, v9, v8 dst_sel:DWORD dst_unused:UNUSED_PAD src0_sel:WORD_1 src1_sel:WORD_1
	v_sub_f16_e32 v13, v8, v9
	v_sub_f16_sdwa v8, v8, v9 dst_sel:DWORD dst_unused:UNUSED_PAD src0_sel:WORD_1 src1_sel:WORD_1
	s_waitcnt vmcnt(0)
	v_lshrrev_b32_e32 v14, 16, v4
	v_fma_f16 v9, v13, v14, v11
	v_fma_f16 v15, v12, v14, v8
	v_fma_f16 v11, -v13, v14, v11
	v_fma_f16 v8, v12, v14, -v8
	v_fma_f16 v9, -v4, v12, v9
	v_fmac_f16_e32 v15, v13, v4
	v_fmac_f16_e32 v11, v4, v12
	;; [unrolled: 1-line block ×3, first 2 shown]
	v_pack_b32_f16 v4, v9, v15
	v_pack_b32_f16 v8, v11, v8
	ds_write_b32 v0, v4 offset:3080
	ds_write_b32 v10, v8 offset:3520
.LBB0_21:
	s_or_b32 exec_lo, exec_lo, s1
	v_add_nc_u32_e32 v4, 0x200, v0
	v_add_nc_u32_e32 v8, 0x1600, v0
	s_waitcnt lgkmcnt(0)
	s_barrier
	buffer_gl0_inv
	s_barrier
	buffer_gl0_inv
	ds_read2_b32 v[16:17], v4 offset0:22 offset1:132
	ds_read2_b32 v[10:11], v8 offset0:92 offset1:202
	v_add_nc_u32_e32 v9, 0x400, v0
	v_add_nc_u32_e32 v30, 0x1400, v0
	ds_read2_b32 v[14:15], v9 offset0:44 offset1:154
	ds_read2_b32 v[12:13], v30 offset0:70 offset1:180
	ds_read2_b32 v[8:9], v0 offset1:110
	v_add_nc_u32_e32 v31, 0x600, v0
	v_add_nc_u32_e32 v18, 0x800, v0
	;; [unrolled: 1-line block ×3, first 2 shown]
	v_mov_b32_e32 v36, 0xb853
	v_add_nc_u32_e32 v19, 0x1200, v0
	v_mov_b32_e32 v26, 0xbb47
	ds_read2_b32 v[24:25], v31 offset0:66 offset1:176
	ds_read2_b32 v[22:23], v18 offset0:88 offset1:198
	;; [unrolled: 1-line block ×4, first 2 shown]
	v_mov_b32_e32 v37, 0xbbeb
	v_mov_b32_e32 v34, 0xba0c
	;; [unrolled: 1-line block ×4, first 2 shown]
	s_waitcnt lgkmcnt(7)
	v_pk_add_f16 v41, v10, v16
	v_pk_add_f16 v52, v16, v10 neg_lo:[0,1] neg_hi:[0,1]
	s_mov_b32 s4, exec_lo
	v_pk_mul_f16 v27, 0x3abb36a6, v41
	s_waitcnt lgkmcnt(5)
	v_pk_add_f16 v42, v12, v14
	v_mul_f16_sdwa v40, v52, v36 dst_sel:DWORD dst_unused:UNUSED_PAD src0_sel:WORD_1 src1_sel:DWORD
	v_lshrrev_b32_e32 v53, 16, v41
	v_mul_f16_e32 v54, 0xbb47, v52
	v_pk_fma_f16 v38, 0xbb47b853, v52, v27 op_sel:[0,0,1] op_sel_hi:[1,1,0] neg_lo:[0,1,0] neg_hi:[0,1,0]
	v_pk_fma_f16 v55, 0xbb47b853, v52, v27 op_sel:[0,0,1] op_sel_hi:[1,1,0]
	v_pk_add_f16 v56, v14, v12 neg_lo:[0,1] neg_hi:[0,1]
	v_pk_mul_f16 v27, 0x36a6b93d, v42
	v_fma_f16 v28, v41, 0x3abb, -v40
	v_fmamk_f16 v29, v53, 0x36a6, v54
	v_bfi_b32 v33, 0xffff, v55, v38
	v_mul_f16_sdwa v43, v56, v26 dst_sel:DWORD dst_unused:UNUSED_PAD src0_sel:WORD_1 src1_sel:DWORD
	v_add_nc_u32_e32 v26, 0xc00, v0
	v_pk_fma_f16 v39, 0xba0cbb47, v56, v27 op_sel:[0,0,1] op_sel_hi:[1,1,0] neg_lo:[0,1,0] neg_hi:[0,1,0]
	s_waitcnt lgkmcnt(4)
	v_add_f16_e32 v35, v8, v28
	v_pk_add_f16 v47, v8, v33 op_sel:[1,0] op_sel_hi:[0,1]
	v_add_nc_u32_e32 v33, 0xa00, v0
	v_add_f16_sdwa v45, v8, v29 dst_sel:DWORD dst_unused:UNUSED_PAD src0_sel:WORD_1 src1_sel:DWORD
	v_pk_fma_f16 v57, 0xba0cbb47, v56, v27 op_sel:[0,0,1] op_sel_hi:[1,1,0]
	ds_read2_b32 v[26:27], v26 offset0:132 offset1:242
	ds_read2_b32 v[28:29], v33 offset0:110 offset1:220
	v_lshrrev_b32_e32 v58, 16, v42
	v_mul_f16_e32 v59, 0xba0c, v56
	s_waitcnt lgkmcnt(2)
	v_pk_add_f16 v60, v24, v18 neg_lo:[0,1] neg_hi:[0,1]
	v_pk_add_f16 v44, v18, v24
	v_bfi_b32 v49, 0xffff, v57, v39
	v_fma_f16 v48, v42, 0x36a6, -v43
	v_fmamk_f16 v50, v58, 0xb93d, v59
	v_mul_f16_sdwa v46, v60, v37 dst_sel:DWORD dst_unused:UNUSED_PAD src0_sel:WORD_1 src1_sel:DWORD
	v_pk_mul_f16 v51, 0xb08ebbad, v44
	v_pk_add_f16 v61, v49, v47
	v_pk_add_f16 v49, v20, v22
	v_add_f16_e32 v35, v48, v35
	v_add_f16_e32 v62, v50, v45
	v_fma_f16 v45, v44, 0xb08e, -v46
	v_pk_fma_f16 v47, 0x3482bbeb, v60, v51 op_sel:[0,0,1] op_sel_hi:[1,1,0] neg_lo:[0,1,0] neg_hi:[0,1,0]
	v_pk_add_f16 v63, v22, v20 neg_lo:[0,1] neg_hi:[0,1]
	v_pk_fma_f16 v64, 0x3482bbeb, v60, v51 op_sel:[0,0,1] op_sel_hi:[1,1,0]
	v_lshrrev_b32_e32 v65, 16, v44
	v_mul_f16_e32 v66, 0x3482, v60
	v_pk_mul_f16 v51, 0xb93db08e, v49
	s_waitcnt lgkmcnt(0)
	v_pk_add_f16 v50, v26, v28
	v_add_f16_e32 v35, v45, v35
	v_bfi_b32 v67, 0xffff, v64, v47
	v_fmamk_f16 v68, v65, 0xbbad, v66
	v_pk_fma_f16 v45, 0x3bebba0c, v63, v51 op_sel:[0,0,1] op_sel_hi:[1,1,0] neg_lo:[0,1,0] neg_hi:[0,1,0]
	v_pk_fma_f16 v70, 0x3bebba0c, v63, v51 op_sel:[0,0,1] op_sel_hi:[1,1,0]
	v_lshrrev_b32_e32 v71, 16, v49
	v_mul_f16_e32 v72, 0x3beb, v63
	v_pk_add_f16 v73, v28, v26 neg_lo:[0,1] neg_hi:[0,1]
	v_pk_mul_f16 v74, 0xbbad3abb, v50
	v_mul_f16_sdwa v48, v63, v34 dst_sel:DWORD dst_unused:UNUSED_PAD src0_sel:WORD_1 src1_sel:DWORD
	v_pk_add_f16 v61, v67, v61
	v_add_f16_e32 v62, v68, v62
	v_bfi_b32 v67, 0xffff, v70, v45
	v_fmamk_f16 v68, v71, 0xb08e, v72
	v_pk_fma_f16 v51, 0x3853b482, v73, v74 op_sel:[0,0,1] op_sel_hi:[1,1,0] neg_lo:[0,1,0] neg_hi:[0,1,0]
	v_pk_fma_f16 v76, 0x3853b482, v73, v74 op_sel:[0,0,1] op_sel_hi:[1,1,0]
	v_lshrrev_b32_e32 v77, 16, v50
	v_mul_f16_e32 v78, 0x3853, v73
	v_fma_f16 v69, v49, 0xb93d, -v48
	v_pk_add_f16 v61, v67, v61
	v_mul_f16_sdwa v67, v73, v75 dst_sel:DWORD dst_unused:UNUSED_PAD src0_sel:WORD_1 src1_sel:DWORD
	v_add_f16_e32 v62, v68, v62
	v_bfi_b32 v68, 0xffff, v76, v51
	v_fmamk_f16 v76, v77, 0x3abb, v78
	v_add_f16_e32 v35, v69, v35
	v_fma_f16 v69, v50, 0xbbad, -v67
	v_mul_f16_e32 v79, 0xbbeb, v52
	v_pk_add_f16 v61, v68, v61
	v_add_f16_e32 v62, v76, v62
	v_mul_f16_sdwa v68, v52, v37 dst_sel:DWORD dst_unused:UNUSED_PAD src0_sel:WORD_1 src1_sel:DWORD
	v_mov_b32_e32 v76, 0x3482
	v_add_f16_e32 v35, v69, v35
	v_fmamk_f16 v81, v53, 0xb08e, v79
	v_mul_f16_e32 v82, 0x3482, v56
	v_fma_f16 v69, v41, 0xb08e, -v68
	v_mul_f16_sdwa v80, v56, v76 dst_sel:DWORD dst_unused:UNUSED_PAD src0_sel:WORD_1 src1_sel:DWORD
	v_mul_f16_sdwa v83, v52, v34 dst_sel:DWORD dst_unused:UNUSED_PAD src0_sel:WORD_1 src1_sel:DWORD
	v_add_f16_sdwa v81, v8, v81 dst_sel:DWORD dst_unused:UNUSED_PAD src0_sel:WORD_1 src1_sel:DWORD
	v_fmamk_f16 v86, v58, 0xbbad, v82
	v_add_f16_e32 v69, v8, v69
	v_fma_f16 v85, v42, 0xbbad, -v80
	v_fma_f16 v87, v41, 0xb93d, -v83
	v_mul_f16_sdwa v88, v56, v84 dst_sel:DWORD dst_unused:UNUSED_PAD src0_sel:WORD_1 src1_sel:DWORD
	v_mul_f16_e32 v89, 0xba0c, v52
	v_add_f16_e32 v81, v86, v81
	v_add_f16_e32 v69, v85, v69
	v_mov_b32_e32 v85, 0x3b47
	v_add_f16_e32 v86, v8, v87
	v_fmamk_f16 v87, v53, 0xb93d, v89
	v_mul_f16_e32 v90, 0x3beb, v56
	v_fma_f16 v92, v42, 0xb08e, -v88
	v_mul_f16_sdwa v91, v60, v85 dst_sel:DWORD dst_unused:UNUSED_PAD src0_sel:WORD_1 src1_sel:DWORD
	v_mul_f16_e32 v93, 0x3b47, v60
	v_add_f16_sdwa v87, v8, v87 dst_sel:DWORD dst_unused:UNUSED_PAD src0_sel:WORD_1 src1_sel:DWORD
	v_fmamk_f16 v94, v58, 0xb08e, v90
	v_add_f16_e32 v86, v92, v86
	v_fma_f16 v95, v44, 0x36a6, -v91
	v_fmamk_f16 v92, v65, 0x36a6, v93
	v_mul_f16_sdwa v96, v60, v36 dst_sel:DWORD dst_unused:UNUSED_PAD src0_sel:WORD_1 src1_sel:DWORD
	v_add_f16_e32 v87, v94, v87
	v_mul_f16_e32 v94, 0xb853, v60
	v_add_f16_e32 v69, v95, v69
	v_add_f16_e32 v81, v92, v81
	v_fma_f16 v92, v44, 0x3abb, -v96
	v_mul_f16_sdwa v95, v63, v36 dst_sel:DWORD dst_unused:UNUSED_PAD src0_sel:WORD_1 src1_sel:DWORD
	v_fmamk_f16 v98, v65, 0x3abb, v94
	v_mul_f16_sdwa v99, v63, v75 dst_sel:DWORD dst_unused:UNUSED_PAD src0_sel:WORD_1 src1_sel:DWORD
	v_mul_f16_e32 v101, 0xb482, v63
	v_add_f16_e32 v86, v92, v86
	v_fma_f16 v92, v49, 0x3abb, -v95
	v_add_f16_e32 v87, v98, v87
	v_fma_f16 v98, v49, 0xbbad, -v99
	v_mul_f16_e32 v102, 0x3b47, v73
	v_pk_mul_f16 v104, 0xbbad, v41 op_sel_hi:[0,1]
	v_add_f16_e32 v69, v92, v69
	v_mul_f16_sdwa v92, v73, v34 dst_sel:DWORD dst_unused:UNUSED_PAD src0_sel:WORD_1 src1_sel:DWORD
	v_add_f16_e32 v86, v98, v86
	v_fmamk_f16 v98, v71, 0xbbad, v101
	v_fmamk_f16 v105, v77, 0x36a6, v102
	v_pk_mul_f16 v106, 0x3abb, v42 op_sel_hi:[0,1]
	v_fma_f16 v103, v50, 0xb93d, -v92
	v_mul_f16_e32 v97, 0xb853, v63
	v_add_f16_e32 v87, v98, v87
	v_pk_mul_f16 v108, 0xb93d, v44 op_sel_hi:[0,1]
	v_pk_fma_f16 v107, 0x3853, v56, v106 op_sel:[0,0,1] op_sel_hi:[0,1,0] neg_lo:[0,1,0] neg_hi:[0,1,0]
	v_add_f16_e32 v69, v103, v69
	v_pk_fma_f16 v103, 0xb482, v52, v104 op_sel:[0,0,1] op_sel_hi:[0,1,0] neg_lo:[0,1,0] neg_hi:[0,1,0]
	v_add_f16_e32 v87, v105, v87
	v_pk_fma_f16 v52, 0xb482, v52, v104 op_sel:[0,0,1] op_sel_hi:[0,1,0]
	v_fmamk_f16 v100, v71, 0x3abb, v97
	v_alignbit_b32 v104, s0, v8, 16
	v_alignbit_b32 v105, s0, v103, 16
	;; [unrolled: 1-line block ×3, first 2 shown]
	v_pk_fma_f16 v56, 0x3853, v56, v106 op_sel:[0,0,1] op_sel_hi:[0,1,0]
	v_pk_add_f16 v52, v8, v52 op_sel:[1,0] op_sel_hi:[0,1]
	v_add_f16_e32 v81, v100, v81
	v_pk_add_f16 v105, v8, v105
	v_mul_f16_sdwa v100, v73, v85 dst_sel:DWORD dst_unused:UNUSED_PAD src0_sel:WORD_1 src1_sel:DWORD
	v_pk_fma_f16 v106, 0xba0c, v60, v108 op_sel:[0,0,1] op_sel_hi:[0,1,0] neg_lo:[0,1,0] neg_hi:[0,1,0]
	v_pk_add_f16 v103, v104, v103
	v_pk_add_f16 v52, v56, v52
	;; [unrolled: 1-line block ×3, first 2 shown]
	v_pk_mul_f16 v105, 0x36a6, v49 op_sel_hi:[0,1]
	v_pk_fma_f16 v60, 0xba0c, v60, v108 op_sel:[0,0,1] op_sel_hi:[0,1,0]
	v_fma_f16 v98, v50, 0x36a6, -v100
	v_alignbit_b32 v56, s0, v106, 16
	v_pk_add_f16 v103, v107, v103
	v_pk_fma_f16 v109, 0x3b47, v63, v105 op_sel:[0,0,1] op_sel_hi:[0,1,0] neg_lo:[0,1,0] neg_hi:[0,1,0]
	v_pk_add_f16 v52, v60, v52
	v_pk_mul_f16 v60, 0xb08e, v50 op_sel_hi:[0,1]
	v_add_f16_e32 v86, v98, v86
	v_mul_f16_e32 v98, 0xb93d, v77
	v_pk_add_f16 v56, v56, v104
	v_alignbit_b32 v104, s0, v109, 16
	v_pk_fma_f16 v63, 0x3b47, v63, v105 op_sel:[0,0,1] op_sel_hi:[0,1,0]
	v_pk_add_f16 v103, v106, v103
	v_pk_fma_f16 v105, 0xbbeb, v73, v60 op_sel:[0,0,1] op_sel_hi:[0,1,0] neg_lo:[0,1,0] neg_hi:[0,1,0]
	v_fmamk_f16 v108, v73, 0xba0c, v98
	v_pk_add_f16 v56, v104, v56
	v_pk_add_f16 v52, v63, v52
	v_pk_fma_f16 v60, 0xbbeb, v73, v60 op_sel:[0,0,1] op_sel_hi:[0,1,0]
	v_pk_add_f16 v63, v109, v103
	v_alignbit_b32 v103, s0, v105, 16
	v_add_f16_e32 v81, v108, v81
	v_alignbit_b32 v62, v62, v61, 16
	v_pack_b32_f16 v61, v35, v61
	v_mad_u32_u24 v35, v3, 40, v0
	v_pk_add_f16 v52, v60, v52
	v_pk_add_f16 v60, v105, v63
	;; [unrolled: 1-line block ×3, first 2 shown]
	v_alignbit_b32 v55, s0, v55, 16
	v_pack_b32_f16 v86, v86, v87
	v_pack_b32_f16 v69, v69, v81
	s_barrier
	buffer_gl0_inv
	ds_write2_b32 v35, v61, v62 offset0:1 offset1:2
	ds_write2_b32 v35, v69, v86 offset0:3 offset1:4
	v_alignbit_b32 v69, v60, v52, 16
	v_pack_b32_f16 v81, v56, v52
	v_pk_add_f16 v52, v8, v55
	v_alignbit_b32 v55, s0, v57, 16
	v_fma_f16 v54, v53, 0x36a6, -v54
	v_fma_f16 v56, v53, 0xb08e, -v79
	v_fmac_f16_e32 v68, 0xb08e, v41
	v_fma_f16 v53, v53, 0xb93d, -v89
	v_pk_add_f16 v52, v55, v52
	v_add_f16_sdwa v54, v8, v54 dst_sel:DWORD dst_unused:UNUSED_PAD src0_sel:WORD_1 src1_sel:DWORD
	v_fma_f16 v55, v58, 0xb93d, -v59
	v_add_f16_e32 v57, v8, v68
	v_fmac_f16_e32 v80, 0xbbad, v42
	v_fmac_f16_e32 v83, 0xb93d, v41
	v_add_f16_sdwa v56, v8, v56 dst_sel:DWORD dst_unused:UNUSED_PAD src0_sel:WORD_1 src1_sel:DWORD
	v_fma_f16 v59, v58, 0xbbad, -v82
	v_fma_f16 v58, v58, 0xb08e, -v90
	v_add_f16_sdwa v53, v8, v53 dst_sel:DWORD dst_unused:UNUSED_PAD src0_sel:WORD_1 src1_sel:DWORD
	v_pk_add_f16 v16, v8, v16
	v_add_f16_e32 v54, v55, v54
	v_add_f16_e32 v55, v80, v57
	;; [unrolled: 1-line block ×3, first 2 shown]
	v_fmac_f16_e32 v88, 0xb08e, v42
	v_add_f16_e32 v56, v59, v56
	v_alignbit_b32 v59, s0, v64, 16
	v_fma_f16 v60, v65, 0xbbad, -v66
	v_fmac_f16_e32 v91, 0x36a6, v44
	v_add_f16_e32 v53, v58, v53
	v_fma_f16 v58, v65, 0x36a6, -v93
	v_pk_add_f16 v14, v16, v14
	v_add_f16_e32 v57, v88, v57
	v_pk_add_f16 v52, v59, v52
	v_add_f16_e32 v54, v60, v54
	v_add_f16_e32 v55, v91, v55
	v_fmac_f16_e32 v96, 0x3abb, v44
	v_fma_f16 v59, v65, 0x3abb, -v94
	v_add_f16_e32 v56, v58, v56
	v_fma_f16 v58, v71, 0xb08e, -v72
	v_fmac_f16_e32 v95, 0x3abb, v49
	v_pk_add_f16 v14, v14, v24
	v_add_f16_e32 v57, v96, v57
	v_add_f16_e32 v53, v59, v53
	;; [unrolled: 1-line block ×4, first 2 shown]
	v_fma_f16 v58, v71, 0x3abb, -v97
	v_fmac_f16_e32 v99, 0xbbad, v49
	v_fma_f16 v16, v71, 0xbbad, -v101
	v_fma_f16 v59, v77, 0x3abb, -v78
	v_fmac_f16_e32 v92, 0xb93d, v50
	v_pk_add_f16 v14, v14, v22
	v_add_f16_e32 v57, v99, v57
	v_add_f16_e32 v16, v16, v53
	;; [unrolled: 1-line block ×4, first 2 shown]
	v_fma_f16 v54, v77, 0x36a6, -v102
	v_pack_b32_f16 v22, v58, v74
	v_pk_mul_f16 v55, 0x3853b482, v73
	v_mul_f16_e32 v58, 0xba0c, v73
	v_lshlrev_b32_e32 v52, 16, v52
	v_pk_add_f16 v14, v14, v28
	v_fmac_f16_e32 v100, 0x36a6, v50
	v_bfi_b32 v28, 0xffff, v56, v55
	v_pk_add_f16 v55, v98, v58 neg_lo:[0,1] neg_hi:[0,1]
	v_pk_add_f16 v52, v70, v52
	v_pk_add_f16 v26, v14, v26
	v_add_f16_e32 v56, v100, v57
	v_pk_add_f16 v14, v17, v11 neg_lo:[0,1] neg_hi:[0,1]
	v_add_f16_e32 v16, v54, v16
	v_pk_add_f16 v22, v22, v28
	v_bfi_b32 v28, 0xffff, v55, v52
	v_pk_add_f16 v26, v26, v20
	v_pk_add_f16 v20, v11, v17
	v_mul_f16_sdwa v55, v14, v37 dst_sel:DWORD dst_unused:UNUSED_PAD src0_sel:WORD_1 src1_sel:DWORD
	v_pack_b32_f16 v68, v56, v16
	v_pk_add_f16 v16, v15, v13 neg_lo:[0,1] neg_hi:[0,1]
	v_pk_add_f16 v22, v28, v22
	v_pk_add_f16 v26, v26, v18
	v_fma_f16 v28, v20, 0xb08e, -v55
	v_pk_add_f16 v18, v13, v15
	v_mul_f16_sdwa v56, v16, v76 dst_sel:DWORD dst_unused:UNUSED_PAD src0_sel:WORD_1 src1_sel:DWORD
	v_alignbit_b32 v70, v24, v22, 16
	v_mov_b32_e32 v24, 0xb08e
	v_pack_b32_f16 v71, v53, v22
	v_add_f16_e32 v22, v9, v28
	v_fma_f16 v37, v18, 0xbbad, -v56
	v_mul_f16_sdwa v60, v14, v34 dst_sel:DWORD dst_unused:UNUSED_PAD src0_sel:WORD_1 src1_sel:DWORD
	v_mov_b32_e32 v72, 0xb93d
	v_mul_f16_sdwa v53, v20, v24 dst_sel:DWORD dst_unused:UNUSED_PAD src0_sel:WORD_1 src1_sel:DWORD
	v_mov_b32_e32 v28, 0xbbad
	v_add_f16_e32 v58, v37, v22
	v_fma_f16 v22, v20, 0xb93d, -v60
	v_mul_f16_sdwa v64, v20, v72 dst_sel:DWORD dst_unused:UNUSED_PAD src0_sel:WORD_1 src1_sel:DWORD
	v_fmamk_f16 v52, v14, 0xbbeb, v53
	v_mul_f16_sdwa v54, v18, v28 dst_sel:DWORD dst_unused:UNUSED_PAD src0_sel:WORD_1 src1_sel:DWORD
	v_mul_f16_sdwa v61, v16, v84 dst_sel:DWORD dst_unused:UNUSED_PAD src0_sel:WORD_1 src1_sel:DWORD
	v_add_f16_e32 v63, v9, v22
	v_fmamk_f16 v57, v14, 0xba0c, v64
	v_pk_add_f16 v22, v25, v19 neg_lo:[0,1] neg_hi:[0,1]
	v_pk_add_f16 v37, v19, v25
	v_mov_b32_e32 v73, 0x36a6
	v_add_f16_sdwa v52, v9, v52 dst_sel:DWORD dst_unused:UNUSED_PAD src0_sel:WORD_1 src1_sel:DWORD
	v_fmamk_f16 v62, v16, 0x3482, v54
	v_mul_f16_sdwa v65, v18, v24 dst_sel:DWORD dst_unused:UNUSED_PAD src0_sel:WORD_1 src1_sel:DWORD
	v_fma_f16 v24, v18, 0xb08e, -v61
	v_mul_f16_sdwa v59, v22, v85 dst_sel:DWORD dst_unused:UNUSED_PAD src0_sel:WORD_1 src1_sel:DWORD
	v_add_f16_sdwa v66, v9, v57 dst_sel:DWORD dst_unused:UNUSED_PAD src0_sel:WORD_1 src1_sel:DWORD
	v_mul_f16_sdwa v57, v37, v73 dst_sel:DWORD dst_unused:UNUSED_PAD src0_sel:WORD_1 src1_sel:DWORD
	v_add_f16_e32 v52, v62, v52
	v_add_f16_e32 v77, v24, v63
	v_fma_f16 v76, v37, 0x36a6, -v59
	v_fmamk_f16 v74, v16, 0x3beb, v65
	v_fmamk_f16 v24, v22, 0x3b47, v57
	v_mul_f16_sdwa v62, v22, v36 dst_sel:DWORD dst_unused:UNUSED_PAD src0_sel:WORD_1 src1_sel:DWORD
	v_pk_add_f16 v12, v26, v12
	v_add_f16_e32 v76, v76, v58
	v_mov_b32_e32 v58, 0x3abb
	v_add_f16_e32 v78, v24, v52
	v_pk_add_f16 v24, v23, v21 neg_lo:[0,1] neg_hi:[0,1]
	v_add_f16_e32 v74, v74, v66
	v_fma_f16 v79, v37, 0x3abb, -v62
	v_pk_add_f16 v52, v21, v23
	v_mul_f16_sdwa v66, v37, v58 dst_sel:DWORD dst_unused:UNUSED_PAD src0_sel:WORD_1 src1_sel:DWORD
	v_mul_f16_sdwa v63, v24, v36 dst_sel:DWORD dst_unused:UNUSED_PAD src0_sel:WORD_1 src1_sel:DWORD
	v_fmac_f16_e32 v40, 0x3abb, v41
	v_add_f16_e32 v26, v79, v77
	v_mul_f16_sdwa v58, v52, v58 dst_sel:DWORD dst_unused:UNUSED_PAD src0_sel:WORD_1 src1_sel:DWORD
	v_fmamk_f16 v36, v22, 0xb853, v66
	v_fma_f16 v41, v52, 0x3abb, -v63
	v_fmac_f16_e32 v43, 0x36a6, v42
	v_pk_add_f16 v77, v12, v10
	v_add_f16_e32 v10, v8, v40
	v_mul_f16_sdwa v40, v24, v75 dst_sel:DWORD dst_unused:UNUSED_PAD src0_sel:WORD_1 src1_sel:DWORD
	v_add_f16_sdwa v38, v8, v38 dst_sel:DWORD dst_unused:UNUSED_PAD src0_sel:WORD_1 src1_sel:DWORD
	v_fmamk_f16 v42, v24, 0xb853, v58
	v_add_f16_e32 v12, v36, v74
	v_add_f16_e32 v36, v41, v76
	v_add_f16_e32 v10, v43, v10
	v_mul_f16_sdwa v41, v52, v28 dst_sel:DWORD dst_unused:UNUSED_PAD src0_sel:WORD_1 src1_sel:DWORD
	v_fmac_f16_e32 v46, 0xb08e, v44
	v_pk_add_f16 v8, v29, v27 neg_lo:[0,1] neg_hi:[0,1]
	v_fma_f16 v28, v52, 0xbbad, -v40
	v_add_f16_e32 v39, v39, v38
	v_add_f16_e32 v74, v42, v78
	v_fmamk_f16 v42, v24, 0xb482, v41
	v_add_f16_e32 v43, v46, v10
	v_pk_add_f16 v10, v27, v29
	v_mul_f16_sdwa v38, v8, v34 dst_sel:DWORD dst_unused:UNUSED_PAD src0_sel:WORD_1 src1_sel:DWORD
	v_fmac_f16_e32 v48, 0xb93d, v49
	v_add_f16_e32 v34, v28, v26
	v_add_f16_e32 v26, v47, v39
	;; [unrolled: 1-line block ×3, first 2 shown]
	v_mul_f16_sdwa v12, v10, v72 dst_sel:DWORD dst_unused:UNUSED_PAD src0_sel:WORD_1 src1_sel:DWORD
	v_mul_f16_sdwa v39, v8, v85 dst_sel:DWORD dst_unused:UNUSED_PAD src0_sel:WORD_1 src1_sel:DWORD
	;; [unrolled: 1-line block ×3, first 2 shown]
	v_add_f16_e32 v43, v48, v43
	v_fmac_f16_e32 v67, 0xbbad, v50
	v_add_f16_e32 v26, v45, v26
	v_fma_f16 v28, v10, 0xb93d, -v38
	v_fmamk_f16 v45, v8, 0xba0c, v12
	v_fma_f16 v46, v10, 0x36a6, -v39
	v_fmamk_f16 v48, v8, 0x3b47, v42
	v_add_f16_e32 v43, v67, v43
	v_add_f16_e32 v47, v51, v26
	;; [unrolled: 1-line block ×6, first 2 shown]
	v_pack_b32_f16 v43, v43, v47
	ds_write2_b32 v35, v81, v69 offset0:5 offset1:6
	ds_write2_b32 v35, v77, v68 offset1:7
	ds_write2_b32 v35, v71, v70 offset0:8 offset1:9
	ds_write_b32 v35, v43 offset:40
	v_cmpx_gt_u32_e32 40, v3
	s_cbranch_execz .LBB0_23
; %bb.22:
	v_mul_f16_e32 v46, 0xba0c, v14
	v_mul_f16_e32 v45, 0xb93d, v20
	;; [unrolled: 1-line block ×5, first 2 shown]
	v_sub_f16_e32 v46, v64, v46
	v_mul_f16_e32 v69, 0xb853, v22
	v_sub_f16_e32 v50, v65, v50
	v_add_f16_e32 v45, v45, v60
	v_mul_f16_e32 v47, 0xbbad, v18
	v_add_f16_sdwa v46, v9, v46 dst_sel:DWORD dst_unused:UNUSED_PAD src0_sel:WORD_1 src1_sel:DWORD
	v_mul_f16_e32 v68, 0x3abb, v37
	v_mul_f16_e32 v73, 0xb482, v24
	v_add_f16_e32 v45, v9, v45
	v_add_f16_e32 v49, v49, v61
	;; [unrolled: 1-line block ×3, first 2 shown]
	v_sub_f16_e32 v50, v66, v69
	v_add_f16_e32 v43, v43, v55
	v_mul_f16_e32 v51, 0x36a6, v37
	v_mul_f16_e32 v72, 0xbbad, v52
	v_add_f16_e32 v45, v49, v45
	v_add_f16_e32 v46, v50, v46
	;; [unrolled: 1-line block ×3, first 2 shown]
	v_sub_f16_e32 v41, v41, v73
	v_add_f16_e32 v43, v9, v43
	v_add_f16_e32 v47, v47, v56
	v_pk_add_f16 v17, v9, v17
	v_mul_f16_e32 v70, 0x3abb, v52
	v_mul_f16_e32 v75, 0x36a6, v10
	v_add_f16_e32 v45, v49, v45
	v_add_f16_e32 v40, v72, v40
	;; [unrolled: 1-line block ×5, first 2 shown]
	v_pk_add_f16 v15, v17, v15
	v_mul_f16_e32 v64, 0xb93d, v10
	v_add_f16_e32 v40, v40, v45
	v_add_f16_e32 v39, v75, v39
	;; [unrolled: 1-line block ×4, first 2 shown]
	v_pk_add_f16 v15, v15, v25
	v_pk_mul_f16 v65, 0x3abb36a6, v20
	v_add_f16_e32 v39, v39, v40
	v_add_f16_e32 v38, v64, v38
	;; [unrolled: 1-line block ×3, first 2 shown]
	v_pk_add_f16 v15, v15, v23
	v_mul_f16_e32 v44, 0xbbeb, v14
	v_pk_mul_f16 v60, 0x36a6b93d, v18
	v_pk_fma_f16 v23, 0xbb47b853, v14, v65 op_sel:[0,0,1] op_sel_hi:[1,1,0]
	v_add_f16_e32 v38, v38, v40
	v_pk_fma_f16 v40, 0xbb47b853, v14, v65 op_sel:[0,0,1] op_sel_hi:[1,1,0] neg_lo:[0,1,0] neg_hi:[0,1,0]
	v_pk_add_f16 v15, v15, v29
	v_mul_f16_e32 v76, 0x3b47, v8
	v_pk_mul_f16 v77, 0xb08ebbad, v37
	v_sub_f16_e32 v17, v53, v44
	v_pk_fma_f16 v44, 0xba0cbb47, v16, v60 op_sel:[0,0,1] op_sel_hi:[1,1,0]
	v_pk_fma_f16 v45, 0xba0cbb47, v16, v60 op_sel:[0,0,1] op_sel_hi:[1,1,0] neg_lo:[0,1,0] neg_hi:[0,1,0]
	v_add_f16_sdwa v46, v9, v40 dst_sel:DWORD dst_unused:UNUSED_PAD src0_sel:WORD_1 src1_sel:DWORD
	v_bfi_b32 v29, 0xffff, v23, v40
	v_pk_add_f16 v15, v15, v27
	v_mul_f16_e32 v48, 0x3482, v16
	v_pk_mul_f16 v61, 0xb93db08e, v52
	v_sub_f16_e32 v42, v42, v76
	v_pk_fma_f16 v40, 0x3482bbeb, v22, v77 op_sel:[0,0,1] op_sel_hi:[1,1,0]
	v_pk_fma_f16 v47, 0x3482bbeb, v22, v77 op_sel:[0,0,1] op_sel_hi:[1,1,0] neg_lo:[0,1,0] neg_hi:[0,1,0]
	v_add_f16_e32 v46, v45, v46
	v_pk_add_f16 v27, v9, v29 op_sel:[1,0] op_sel_hi:[0,1]
	v_bfi_b32 v29, 0xffff, v44, v45
	v_pk_add_f16 v15, v15, v21
	v_pk_mul_f16 v66, 0xbbad3abb, v10
	v_add_f16_e32 v41, v42, v41
	v_sub_f16_e32 v42, v54, v48
	v_pk_fma_f16 v45, 0x3bebba0c, v24, v61 op_sel:[0,0,1] op_sel_hi:[1,1,0]
	v_pk_fma_f16 v48, 0x3bebba0c, v24, v61 op_sel:[0,0,1] op_sel_hi:[1,1,0] neg_lo:[0,1,0] neg_hi:[0,1,0]
	v_add_f16_e32 v46, v47, v46
	v_pk_add_f16 v21, v29, v27
	v_bfi_b32 v27, 0xffff, v40, v47
	v_pk_add_f16 v15, v15, v19
	v_pk_fma_f16 v47, 0x3853b482, v8, v66 op_sel:[0,0,1] op_sel_hi:[1,1,0] neg_lo:[0,1,0] neg_hi:[0,1,0]
	v_add_f16_e32 v19, v48, v46
	v_pk_fma_f16 v46, 0x3853b482, v8, v66 op_sel:[0,0,1] op_sel_hi:[1,1,0]
	v_pk_add_f16 v21, v27, v21
	v_bfi_b32 v27, 0xffff, v45, v48
	v_pk_add_f16 v13, v15, v13
	v_pk_mul_f16 v15, 0xbbad, v20 op_sel_hi:[0,1]
	v_add_f16_e32 v19, v47, v19
	v_mul_f16_e32 v67, 0x3b47, v22
	v_pk_add_f16 v21, v27, v21
	v_bfi_b32 v27, 0xffff, v46, v47
	v_pk_add_f16 v11, v13, v11
	v_pk_fma_f16 v13, 0xb482, v14, v15 op_sel:[0,0,1] op_sel_hi:[0,1,0] neg_lo:[0,1,0] neg_hi:[0,1,0]
	v_pk_mul_f16 v47, 0x3abb, v18 op_sel_hi:[0,1]
	v_alignbit_b32 v29, s0, v9, 16
	v_pk_fma_f16 v15, 0xb482, v14, v15 op_sel:[0,0,1] op_sel_hi:[0,1,0]
	v_pk_mul_f16 v56, 0xb93d, v37 op_sel_hi:[0,1]
	v_alignbit_b32 v49, s0, v13, 16
	v_pk_fma_f16 v51, 0x3853, v16, v47 op_sel:[0,0,1] op_sel_hi:[0,1,0] neg_lo:[0,1,0] neg_hi:[0,1,0]
	v_mul_f16_e32 v71, 0xb853, v24
	v_sub_f16_e32 v25, v57, v67
	v_pk_add_f16 v13, v29, v13
	v_pk_add_f16 v49, v9, v49
	v_alignbit_b32 v55, s0, v51, 16
	v_pk_add_f16 v15, v9, v15 op_sel:[1,0] op_sel_hi:[0,1]
	v_pk_fma_f16 v47, 0x3853, v16, v47 op_sel:[0,0,1] op_sel_hi:[0,1,0]
	v_pk_mul_f16 v57, 0x36a6, v52 op_sel_hi:[0,1]
	v_sub_f16_e32 v43, v58, v71
	v_pk_add_f16 v49, v55, v49
	v_pk_fma_f16 v55, 0xba0c, v22, v56 op_sel:[0,0,1] op_sel_hi:[0,1,0] neg_lo:[0,1,0] neg_hi:[0,1,0]
	v_pk_add_f16 v13, v51, v13
	v_pk_add_f16 v15, v47, v15
	v_pk_fma_f16 v47, 0xba0c, v22, v56 op_sel:[0,0,1] op_sel_hi:[0,1,0]
	v_pk_fma_f16 v56, 0x3b47, v24, v57 op_sel:[0,0,1] op_sel_hi:[0,1,0] neg_lo:[0,1,0] neg_hi:[0,1,0]
	v_alignbit_b32 v51, s0, v55, 16
	v_pk_mul_f16 v58, 0xb08e, v10 op_sel_hi:[0,1]
	v_pk_add_f16 v21, v27, v21
	v_add_nc_u32_e32 v27, 0x12f4, v35
	v_perm_b32 v53, v36, v34, 0x5040100
	v_perm_b32 v54, v28, v26, 0x5040100
	v_pk_add_f16 v13, v55, v13
	v_pk_add_f16 v15, v47, v15
	v_pk_fma_f16 v47, 0x3b47, v24, v57 op_sel:[0,0,1] op_sel_hi:[0,1,0]
	v_pk_add_f16 v49, v51, v49
	v_alignbit_b32 v51, s0, v56, 16
	v_pk_fma_f16 v55, 0xbbeb, v8, v58 op_sel:[0,0,1] op_sel_hi:[0,1,0] neg_lo:[0,1,0] neg_hi:[0,1,0]
	v_pk_add_f16 v13, v56, v13
	v_pk_add_f16 v15, v47, v15
	v_pk_fma_f16 v47, 0xbbeb, v8, v58 op_sel:[0,0,1] op_sel_hi:[0,1,0]
	ds_write2_b32 v27, v54, v53 offset1:1
	v_pk_add_f16 v27, v51, v49
	v_alignbit_b32 v49, s0, v55, 16
	v_pk_add_f16 v13, v55, v13
	v_pk_add_f16 v15, v47, v15
	v_alignbit_b32 v17, v17, v23, 16
	v_pk_mul_f16 v20, 0x36a63abb, v20
	v_pk_add_f16 v27, v49, v27
	v_alignbit_b32 v42, v42, v44, 16
	v_alignbit_b32 v13, v13, v15, 16
	v_pk_add_f16 v17, v9, v17
	v_pk_mul_f16 v18, 0xb93d36a6, v18
	v_pack_b32_f16 v15, v27, v15
	v_pk_fma_f16 v27, 0xb853bb47, v14, v20 op_sel:[0,0,1] op_sel_hi:[1,1,0]
	v_mul_f16_e32 v74, 0xba0c, v8
	v_pk_mul_f16 v50, 0x3853b482, v8
	v_pk_add_f16 v17, v42, v17
	v_alignbit_b32 v25, v25, v40, 16
	v_pk_add_f16 v29, v29, v27
	v_pk_fma_f16 v40, 0xbb47ba0c, v16, v18 op_sel:[0,0,1] op_sel_hi:[1,1,0]
	v_pk_mul_f16 v37, 0xbbadb08e, v37
	v_pk_fma_f16 v14, 0xb853bb47, v14, v20 op_sel:[0,0,1] op_sel_hi:[1,1,0] neg_lo:[0,1,0] neg_hi:[0,1,0]
	v_pack_b32_f16 v39, v39, v41
	v_pk_add_f16 v17, v25, v17
	v_bfi_b32 v20, 0xffff, v74, v50
	v_pk_add_f16 v25, v40, v29
	v_pk_fma_f16 v29, 0xbbeb3482, v22, v37 op_sel:[0,0,1] op_sel_hi:[1,1,0]
	v_alignbit_b32 v41, s0, v14, 16
	v_pk_fma_f16 v16, 0xbb47ba0c, v16, v18 op_sel:[0,0,1] op_sel_hi:[1,1,0] neg_lo:[0,1,0] neg_hi:[0,1,0]
	v_pk_add_f16 v12, v12, v20 neg_lo:[0,1] neg_hi:[0,1]
	v_pk_fma_f16 v22, 0xbbeb3482, v22, v37 op_sel:[0,0,1] op_sel_hi:[1,1,0] neg_lo:[0,1,0] neg_hi:[0,1,0]
	v_pk_add_f16 v20, v29, v25
	v_pk_add_f16 v25, v9, v41
	v_alignbit_b32 v41, s0, v16, 16
	v_pk_mul_f16 v37, 0xb08eb93d, v52
	v_bfi_b32 v14, 0xffff, v14, v27
	v_pk_mul_f16 v10, 0x3abbbbad, v10
	v_alignbit_b32 v27, s0, v22, 16
	v_pk_add_f16 v25, v41, v25
	v_pk_fma_f16 v41, 0xba0c3beb, v24, v37 op_sel:[0,0,1] op_sel_hi:[1,1,0] neg_lo:[0,1,0] neg_hi:[0,1,0]
	v_pk_add_f16 v9, v9, v14 op_sel:[1,0] op_sel_hi:[0,1]
	v_bfi_b32 v14, 0xffff, v16, v40
	v_pk_fma_f16 v16, 0xba0c3beb, v24, v37 op_sel:[0,0,1] op_sel_hi:[1,1,0]
	v_pk_add_f16 v24, v27, v25
	v_alignbit_b32 v25, s0, v41, 16
	v_pk_fma_f16 v27, 0xb4823853, v8, v10 op_sel:[0,0,1] op_sel_hi:[1,1,0] neg_lo:[0,1,0] neg_hi:[0,1,0]
	v_pk_add_f16 v9, v14, v9
	v_bfi_b32 v14, 0xffff, v22, v29
	v_alignbit_b32 v18, v43, v45, 16
	v_pk_add_f16 v20, v16, v20
	v_pk_fma_f16 v8, 0xb4823853, v8, v10 op_sel:[0,0,1] op_sel_hi:[1,1,0]
	v_pk_add_f16 v10, v25, v24
	v_alignbit_b32 v22, s0, v27, 16
	v_pk_add_f16 v9, v14, v9
	v_bfi_b32 v14, 0xffff, v41, v16
	v_pk_add_f16 v16, v18, v17
	v_bfi_b32 v12, 0xffff, v12, v46
	v_pk_add_f16 v17, v8, v20
	v_pk_add_f16 v10, v22, v10
	v_pk_add_f16 v9, v14, v9
	v_bfi_b32 v14, 0xffff, v27, v8
	v_add_nc_u32_e32 v23, 0x12fc, v35
	v_add_nc_u32_e32 v18, 0x1000, v35
	;; [unrolled: 1-line block ×3, first 2 shown]
	v_pk_add_f16 v8, v12, v16 op_sel:[0,1] op_sel_hi:[1,0]
	v_alignbit_b32 v12, v17, v21, 16
	v_pack_b32_f16 v10, v10, v21
	v_pk_add_f16 v9, v14, v9
	ds_write2_b32 v23, v15, v13 offset1:1
	ds_write2_b32 v18, v11, v39 offset0:186 offset1:193
	ds_write_b16 v35, v38 offset:4872
	ds_write2_b32 v48, v10, v12 offset1:1
	ds_write_b64 v35, v[8:9] offset:4874
	ds_write_b16 v35, v19 offset:4882
.LBB0_23:
	s_or_b32 exec_lo, exec_lo, s4
	v_add_nc_u32_e32 v10, 0xe00, v0
	s_waitcnt lgkmcnt(0)
	s_barrier
	buffer_gl0_inv
	ds_read2_b32 v[8:9], v0 offset1:110
	ds_read2_b32 v[14:15], v33 offset0:20 offset1:185
	ds_read2_b32 v[16:17], v10 offset0:39 offset1:149
	;; [unrolled: 1-line block ×6, first 2 shown]
	s_and_saveexec_b32 s1, s0
	s_cbranch_execz .LBB0_25
; %bb.24:
	v_mad_i32_i24 v4, 0xffffffd8, v3, v35
	ds_read_b32 v26, v4 offset:3080
	ds_read_b32 v34, v0 offset:6380
	s_waitcnt lgkmcnt(1)
	v_lshrrev_b32_e32 v28, 16, v26
	s_waitcnt lgkmcnt(0)
	v_lshrrev_b32_e32 v36, 16, v34
.LBB0_25:
	s_or_b32 exec_lo, exec_lo, s1
	v_add_nc_u32_e32 v23, 0x6e, v3
	v_and_b32_e32 v24, 0xff, v3
	v_add_nc_u32_e32 v27, 0x1b8, v3
	v_mov_b32_e32 v32, 0xba2f
	v_add_nc_u32_e32 v35, 0x294, v3
	v_and_b32_e32 v25, 0xff, v23
	v_mul_lo_u16 v31, 0x75, v24
	v_add_nc_u32_e32 v22, 0xdc, v3
	v_add_nc_u32_e32 v4, 0x14a, v3
	;; [unrolled: 1-line block ×3, first 2 shown]
	v_mul_lo_u16 v37, 0x75, v25
	v_lshrrev_b16 v38, 8, v31
	v_mul_u32_u24_sdwa v31, v27, v32 dst_sel:DWORD dst_unused:UNUSED_PAD src0_sel:WORD_0 src1_sel:DWORD
	v_mul_u32_u24_sdwa v40, v35, v32 dst_sel:DWORD dst_unused:UNUSED_PAD src0_sel:WORD_0 src1_sel:DWORD
	;; [unrolled: 1-line block ×3, first 2 shown]
	v_lshrrev_b16 v37, 8, v37
	v_sub_nc_u16 v41, v3, v38
	v_mul_u32_u24_sdwa v29, v4, v32 dst_sel:DWORD dst_unused:UNUSED_PAD src0_sel:WORD_0 src1_sel:DWORD
	v_mul_u32_u24_sdwa v39, v33, v32 dst_sel:DWORD dst_unused:UNUSED_PAD src0_sel:WORD_0 src1_sel:DWORD
	v_lshrrev_b32_e32 v45, 19, v31
	v_sub_nc_u16 v42, v23, v37
	v_lshrrev_b16 v41, 1, v41
	v_lshrrev_b32_e32 v40, 19, v40
	v_lshrrev_b32_e32 v43, 19, v30
	;; [unrolled: 1-line block ×3, first 2 shown]
	v_lshrrev_b16 v42, 1, v42
	v_and_b32_e32 v41, 0x7f, v41
	v_lshrrev_b32_e32 v39, 19, v39
	v_mul_lo_u16 v48, v45, 11
	v_mul_lo_u16 v46, v43, 11
	v_and_b32_e32 v42, 0x7f, v42
	v_add_nc_u16 v38, v41, v38
	v_mul_lo_u16 v41, v40, 11
	v_mul_lo_u16 v47, v44, 11
	;; [unrolled: 1-line block ×3, first 2 shown]
	v_add_nc_u16 v37, v42, v37
	v_lshrrev_b16 v38, 3, v38
	v_sub_nc_u16 v35, v35, v41
	v_sub_nc_u16 v41, v27, v48
	v_mov_b32_e32 v24, 2
	v_lshrrev_b16 v37, 3, v37
	v_sub_nc_u16 v42, v22, v46
	v_sub_nc_u16 v46, v4, v47
	v_mul_lo_u16 v47, v38, 11
	v_sub_nc_u16 v33, v33, v49
	v_mul_lo_u16 v48, v37, 11
	v_lshlrev_b32_sdwa v35, v24, v35 dst_sel:DWORD dst_unused:UNUSED_PAD src0_sel:DWORD src1_sel:WORD_0
	v_lshlrev_b32_sdwa v41, v24, v41 dst_sel:DWORD dst_unused:UNUSED_PAD src0_sel:DWORD src1_sel:WORD_0
	v_sub_nc_u16 v47, v3, v47
	v_lshlrev_b32_sdwa v33, v24, v33 dst_sel:DWORD dst_unused:UNUSED_PAD src0_sel:DWORD src1_sel:WORD_0
	v_sub_nc_u16 v48, v23, v48
	v_lshlrev_b32_sdwa v46, v24, v46 dst_sel:DWORD dst_unused:UNUSED_PAD src0_sel:DWORD src1_sel:WORD_0
	v_lshlrev_b32_sdwa v42, v24, v42 dst_sel:DWORD dst_unused:UNUSED_PAD src0_sel:DWORD src1_sel:WORD_0
	s_clause 0x4
	global_load_dword v49, v35, s[12:13]
	global_load_dword v50, v33, s[12:13]
	;; [unrolled: 1-line block ×5, first 2 shown]
	v_lshlrev_b32_sdwa v47, v24, v47 dst_sel:DWORD dst_unused:UNUSED_PAD src0_sel:DWORD src1_sel:BYTE_0
	v_lshlrev_b32_sdwa v48, v24, v48 dst_sel:DWORD dst_unused:UNUSED_PAD src0_sel:DWORD src1_sel:BYTE_0
	v_mov_b32_e32 v56, 0x58
	v_mul_u32_u24_e32 v43, 0x58, v43
	v_mul_u32_u24_e32 v44, 0x58, v44
	;; [unrolled: 1-line block ×3, first 2 shown]
	s_clause 0x1
	global_load_dword v54, v48, s[12:13]
	global_load_dword v55, v47, s[12:13]
	v_mul_u32_u24_e32 v40, 0x58, v40
	v_mul_u32_u24_e32 v45, 0x58, v45
	v_add3_u32 v42, 0, v43, v42
	v_add3_u32 v43, 0, v44, v46
	v_mul_u32_u24_sdwa v38, v38, v56 dst_sel:DWORD dst_unused:UNUSED_PAD src0_sel:WORD_0 src1_sel:DWORD
	v_mul_u32_u24_sdwa v37, v37, v56 dst_sel:DWORD dst_unused:UNUSED_PAD src0_sel:WORD_0 src1_sel:DWORD
	v_add3_u32 v33, 0, v39, v33
	v_add3_u32 v35, 0, v40, v35
	;; [unrolled: 1-line block ×5, first 2 shown]
	s_waitcnt vmcnt(0) lgkmcnt(0)
	s_barrier
	buffer_gl0_inv
	v_pk_mul_f16 v39, v49, v21 op_sel:[0,1]
	v_pk_mul_f16 v40, v50, v20 op_sel:[0,1]
	;; [unrolled: 1-line block ×5, first 2 shown]
	v_pk_fma_f16 v47, v49, v21, v39 op_sel:[0,0,1] op_sel_hi:[1,1,0] neg_lo:[0,0,1] neg_hi:[0,0,1]
	v_pk_fma_f16 v21, v49, v21, v39 op_sel:[0,0,1] op_sel_hi:[1,0,0]
	v_pk_fma_f16 v39, v50, v20, v40 op_sel:[0,0,1] op_sel_hi:[1,1,0] neg_lo:[0,0,1] neg_hi:[0,0,1]
	v_pk_fma_f16 v20, v50, v20, v40 op_sel:[0,0,1] op_sel_hi:[1,0,0]
	v_pk_fma_f16 v40, v51, v19, v44 op_sel:[0,0,1] op_sel_hi:[1,1,0] neg_lo:[0,0,1] neg_hi:[0,0,1]
	v_pk_fma_f16 v19, v51, v19, v44 op_sel:[0,0,1] op_sel_hi:[1,0,0]
	v_pk_mul_f16 v48, v55, v15 op_sel:[0,1]
	v_pk_fma_f16 v44, v52, v18, v45 op_sel:[0,0,1] op_sel_hi:[1,1,0] neg_lo:[0,0,1] neg_hi:[0,0,1]
	v_pk_fma_f16 v18, v52, v18, v45 op_sel:[0,0,1] op_sel_hi:[1,0,0]
	v_pk_fma_f16 v45, v53, v17, v46 op_sel:[0,0,1] op_sel_hi:[1,1,0] neg_lo:[0,0,1] neg_hi:[0,0,1]
	v_pk_fma_f16 v17, v53, v17, v46 op_sel:[0,0,1] op_sel_hi:[1,0,0]
	v_pk_mul_f16 v46, v54, v16 op_sel:[0,1]
	v_bfi_b32 v19, 0xffff, v40, v19
	v_pk_fma_f16 v40, v55, v15, v48 op_sel:[0,0,1] op_sel_hi:[1,1,0] neg_lo:[0,0,1] neg_hi:[0,0,1]
	v_pk_fma_f16 v15, v55, v15, v48 op_sel:[0,0,1] op_sel_hi:[1,0,0]
	v_bfi_b32 v20, 0xffff, v39, v20
	v_pk_fma_f16 v39, v54, v16, v46 op_sel:[0,0,1] op_sel_hi:[1,1,0] neg_lo:[0,0,1] neg_hi:[0,0,1]
	v_pk_fma_f16 v16, v54, v16, v46 op_sel:[0,0,1] op_sel_hi:[1,0,0]
	v_bfi_b32 v17, 0xffff, v45, v17
	v_bfi_b32 v15, 0xffff, v40, v15
	;; [unrolled: 1-line block ×5, first 2 shown]
	v_pk_add_f16 v17, v10, v17 neg_lo:[0,1] neg_hi:[0,1]
	v_pk_add_f16 v15, v8, v15 neg_lo:[0,1] neg_hi:[0,1]
	;; [unrolled: 1-line block ×7, first 2 shown]
	v_pk_fma_f16 v8, v8, 2.0, v15 op_sel_hi:[1,0,1] neg_lo:[0,0,1] neg_hi:[0,0,1]
	v_pk_fma_f16 v10, v10, 2.0, v17 op_sel_hi:[1,0,1] neg_lo:[0,0,1] neg_hi:[0,0,1]
	;; [unrolled: 1-line block ×7, first 2 shown]
	ds_write2_b32 v38, v8, v15 offset1:11
	ds_write2_b32 v37, v9, v16 offset1:11
	;; [unrolled: 1-line block ×7, first 2 shown]
	s_and_saveexec_b32 s1, s0
	s_cbranch_execz .LBB0_27
; %bb.26:
	v_add_nc_u32_e32 v8, 0x302, v3
	v_mul_u32_u24_sdwa v9, v8, v32 dst_sel:DWORD dst_unused:UNUSED_PAD src0_sel:WORD_0 src1_sel:DWORD
	v_lshrrev_b32_e32 v9, 19, v9
	v_mul_lo_u16 v10, v9, 11
	v_mul_lo_u16 v9, v9, 22
	v_sub_nc_u16 v8, v8, v10
	v_lshlrev_b32_sdwa v9, v24, v9 dst_sel:DWORD dst_unused:UNUSED_PAD src0_sel:DWORD src1_sel:WORD_0
	v_lshlrev_b32_sdwa v8, v24, v8 dst_sel:DWORD dst_unused:UNUSED_PAD src0_sel:DWORD src1_sel:WORD_0
	global_load_dword v10, v8, s[12:13]
	v_add3_u32 v8, 0, v8, v9
	s_waitcnt vmcnt(0)
	v_mul_f16_sdwa v11, v36, v10 dst_sel:DWORD dst_unused:UNUSED_PAD src0_sel:DWORD src1_sel:WORD_1
	v_mul_f16_sdwa v12, v34, v10 dst_sel:DWORD dst_unused:UNUSED_PAD src0_sel:DWORD src1_sel:WORD_1
	v_fma_f16 v11, v34, v10, -v11
	v_fmac_f16_e32 v12, v36, v10
	v_sub_f16_e32 v10, v26, v11
	v_sub_f16_e32 v11, v28, v12
	v_fma_f16 v12, v26, 2.0, -v10
	v_fma_f16 v13, v28, 2.0, -v11
	v_pack_b32_f16 v10, v10, v11
	v_pack_b32_f16 v9, v12, v13
	ds_write2_b32 v8, v9, v10 offset1:11
.LBB0_27:
	s_or_b32 exec_lo, exec_lo, s1
	v_lshrrev_b32_e32 v8, 20, v31
	v_lshrrev_b16 v9, 1, v3
	v_mov_b32_e32 v11, 3
	v_lshrrev_b32_e32 v47, 20, v30
	s_waitcnt lgkmcnt(0)
	v_mul_lo_u16 v10, v8, 22
	v_and_b32_e32 v9, 0x7f, v9
	s_barrier
	buffer_gl0_inv
	v_add_nc_u32_e32 v16, 0xa00, v0
	v_sub_nc_u16 v12, v27, v10
	v_lshrrev_b16 v10, 1, v25
	v_mul_lo_u16 v9, 0xbb, v9
	v_add_nc_u32_e32 v17, 0x1400, v0
	v_add_nc_u32_e32 v15, 0xc00, v0
	v_lshlrev_b32_sdwa v13, v11, v12 dst_sel:DWORD dst_unused:UNUSED_PAD src0_sel:DWORD src1_sel:WORD_0
	v_mul_lo_u16 v10, 0xbb, v10
	v_lshrrev_b16 v48, 11, v9
	v_mul_lo_u16 v25, 0xf9, v25
	v_mov_b32_e32 v56, 0xf83f
	global_load_dwordx2 v[18:19], v13, s[12:13] offset:44
	v_lshrrev_b16 v46, 11, v10
	v_mul_lo_u16 v9, v48, 22
	v_mov_b32_e32 v54, 0x108
	v_lshrrev_b16 v58, 14, v25
	v_mul_u32_u24_sdwa v25, v22, v56 dst_sel:DWORD dst_unused:UNUSED_PAD src0_sel:WORD_0 src1_sel:DWORD
	v_mul_lo_u16 v10, v46, 22
	v_sub_nc_u16 v49, v3, v9
	v_lshrrev_b32_e32 v9, 20, v29
	v_mul_u32_u24_sdwa v48, v48, v54 dst_sel:DWORD dst_unused:UNUSED_PAD src0_sel:WORD_0 src1_sel:DWORD
	v_lshrrev_b32_e32 v59, 22, v25
	v_sub_nc_u16 v50, v23, v10
	v_lshlrev_b32_sdwa v10, v11, v49 dst_sel:DWORD dst_unused:UNUSED_PAD src0_sel:DWORD src1_sel:BYTE_0
	v_mul_lo_u16 v14, v9, 22
	v_mul_u32_u24_sdwa v25, v46, v54 dst_sel:DWORD dst_unused:UNUSED_PAD src0_sel:WORD_0 src1_sel:DWORD
	v_mul_u32_u24_e32 v56, 0x108, v9
	v_lshlrev_b32_sdwa v49, v24, v49 dst_sel:DWORD dst_unused:UNUSED_PAD src0_sel:DWORD src1_sel:BYTE_0
	global_load_dwordx2 v[20:21], v10, s[12:13] offset:44
	v_mul_lo_u16 v13, v47, 22
	v_sub_nc_u16 v52, v4, v14
	v_add_nc_u32_e32 v14, 0x200, v0
	v_mul_u32_u24_e32 v57, 0x108, v47
	v_mul_u32_u24_e32 v8, 0x108, v8
	v_sub_nc_u16 v51, v22, v13
	v_lshlrev_b32_sdwa v13, v11, v50 dst_sel:DWORD dst_unused:UNUSED_PAD src0_sel:DWORD src1_sel:BYTE_0
	v_lshlrev_b32_sdwa v10, v11, v52 dst_sel:DWORD dst_unused:UNUSED_PAD src0_sel:DWORD src1_sel:WORD_0
	v_lshlrev_b32_sdwa v50, v24, v50 dst_sel:DWORD dst_unused:UNUSED_PAD src0_sel:DWORD src1_sel:BYTE_0
	v_lshlrev_b32_sdwa v52, v24, v52 dst_sel:DWORD dst_unused:UNUSED_PAD src0_sel:DWORD src1_sel:WORD_0
	v_lshlrev_b32_sdwa v4, v11, v51 dst_sel:DWORD dst_unused:UNUSED_PAD src0_sel:DWORD src1_sel:WORD_0
	s_clause 0x2
	global_load_dwordx2 v[26:27], v13, s[12:13] offset:44
	global_load_dwordx2 v[28:29], v4, s[12:13] offset:44
	;; [unrolled: 1-line block ×3, first 2 shown]
	v_add_nc_u32_e32 v13, 0x600, v0
	v_add_nc_u32_e32 v4, 0x1000, v0
	ds_read2_b32 v[32:33], v0 offset1:110
	ds_read_b32 v53, v0 offset:6160
	ds_read2_b32 v[34:35], v13 offset0:56 offset1:166
	ds_read2_b32 v[36:37], v4 offset0:76 offset1:186
	;; [unrolled: 1-line block ×6, first 2 shown]
	v_add3_u32 v25, 0, v25, v50
	v_add3_u32 v52, 0, v56, v52
	v_lshlrev_b32_sdwa v51, v24, v51 dst_sel:DWORD dst_unused:UNUSED_PAD src0_sel:DWORD src1_sel:WORD_0
	v_lshlrev_b32_sdwa v12, v24, v12 dst_sel:DWORD dst_unused:UNUSED_PAD src0_sel:DWORD src1_sel:WORD_0
	v_add_nc_u32_e32 v11, 0xffffffbe, v3
	v_cmp_gt_u32_e64 s0, 0x42, v3
	v_mov_b32_e32 v10, 0
	v_add3_u32 v51, 0, v57, v51
	v_add3_u32 v8, 0, v8, v12
	s_waitcnt vmcnt(0) lgkmcnt(0)
	v_cndmask_b32_e64 v11, v11, v3, s0
	s_barrier
	buffer_gl0_inv
	v_mov_b32_e32 v55, 4
	v_lshrrev_b32_e32 v65, 16, v34
	v_lshrrev_b32_e32 v67, 16, v35
	;; [unrolled: 1-line block ×15, first 2 shown]
	v_lshlrev_b32_e32 v9, 2, v11
	v_mul_lo_u16 v11, 0x42, v58
	v_lshlrev_b64 v[46:47], 2, v[9:10]
	v_sub_nc_u16 v11, v23, v11
	v_add_co_u32 v46, s0, s12, v46
	v_add_co_ci_u32_e64 v47, s0, s13, v47, s0
	v_cmp_lt_u32_e64 s0, 0x41, v3
	v_mul_f16_sdwa v71, v45, v18 dst_sel:DWORD dst_unused:UNUSED_PAD src0_sel:DWORD src1_sel:WORD_1
	v_mul_f16_sdwa v73, v53, v19 dst_sel:DWORD dst_unused:UNUSED_PAD src0_sel:DWORD src1_sel:WORD_1
	v_mul_f16_sdwa v50, v66, v18 dst_sel:DWORD dst_unused:UNUSED_PAD src0_sel:DWORD src1_sel:WORD_1
	v_mul_f16_sdwa v72, v62, v19 dst_sel:DWORD dst_unused:UNUSED_PAD src0_sel:DWORD src1_sel:WORD_1
	v_fmac_f16_e32 v71, v66, v18
	v_fmac_f16_e32 v73, v62, v19
	v_fma_f16 v45, v45, v18, -v50
	v_fma_f16 v18, v53, v19, -v72
	v_add3_u32 v19, 0, v48, v49
	v_add_f16_e32 v53, v65, v71
	v_sub_f16_e32 v50, v71, v73
	v_add_f16_e32 v62, v71, v73
	v_add_f16_e32 v49, v45, v18
	v_add_f16_e32 v48, v34, v45
	v_sub_f16_e32 v45, v45, v18
	v_mul_f16_sdwa v66, v20, v67 dst_sel:DWORD dst_unused:UNUSED_PAD src0_sel:WORD_1 src1_sel:DWORD
	v_mul_f16_sdwa v71, v20, v35 dst_sel:DWORD dst_unused:UNUSED_PAD src0_sel:WORD_1 src1_sel:DWORD
	;; [unrolled: 1-line block ×4, first 2 shown]
	v_fmac_f16_e32 v34, -0.5, v49
	v_fma_f16 v35, v20, v35, -v66
	v_fmac_f16_e32 v71, v20, v67
	v_fma_f16 v20, v21, v36, -v72
	v_fmac_f16_e32 v74, v21, v68
	v_fmac_f16_e32 v65, -0.5, v62
	v_add_f16_e32 v18, v48, v18
	v_add_f16_e32 v48, v53, v73
	v_mul_f16_sdwa v75, v26, v69 dst_sel:DWORD dst_unused:UNUSED_PAD src0_sel:WORD_1 src1_sel:DWORD
	v_mul_f16_sdwa v76, v26, v38 dst_sel:DWORD dst_unused:UNUSED_PAD src0_sel:WORD_1 src1_sel:DWORD
	;; [unrolled: 1-line block ×4, first 2 shown]
	v_mul_f16_sdwa v79, v54, v28 dst_sel:DWORD dst_unused:UNUSED_PAD src0_sel:DWORD src1_sel:WORD_1
	v_mul_f16_sdwa v80, v39, v28 dst_sel:DWORD dst_unused:UNUSED_PAD src0_sel:DWORD src1_sel:WORD_1
	;; [unrolled: 1-line block ×8, first 2 shown]
	v_fma_f16 v21, v26, v38, -v75
	v_fmac_f16_e32 v76, v26, v69
	v_fma_f16 v26, v27, v37, -v77
	v_fmac_f16_e32 v78, v27, v70
	;; [unrolled: 2-line block ×6, first 2 shown]
	v_add_f16_e32 v38, v35, v20
	v_add_f16_e32 v43, v71, v74
	v_fmamk_f16 v31, v50, 0x3aee, v34
	v_fmac_f16_e32 v34, 0xbaee, v50
	v_fmamk_f16 v36, v45, 0xbaee, v65
	v_fmac_f16_e32 v65, 0x3aee, v45
	v_add_f16_e32 v45, v21, v26
	v_add_f16_e32 v50, v76, v78
	;; [unrolled: 1-line block ×5, first 2 shown]
	v_sub_f16_e32 v39, v71, v74
	v_add_f16_e32 v42, v60, v71
	v_sub_f16_e32 v35, v35, v20
	v_add_f16_e32 v64, v41, v29
	v_add_f16_e32 v66, v29, v30
	;; [unrolled: 1-line block ×4, first 2 shown]
	v_fma_f16 v32, -0.5, v38, v32
	v_fmac_f16_e32 v60, -0.5, v43
	v_pack_b32_f16 v18, v18, v48
	v_add_f16_e32 v44, v33, v21
	v_sub_f16_e32 v48, v76, v78
	v_add_f16_e32 v49, v61, v76
	v_sub_f16_e32 v21, v21, v26
	v_fmac_f16_e32 v33, -0.5, v45
	v_fmac_f16_e32 v61, -0.5, v50
	v_add_f16_e32 v53, v40, v27
	v_sub_f16_e32 v56, v80, v82
	v_add_f16_e32 v62, v12, v80
	v_sub_f16_e32 v27, v27, v28
	v_fma_f16 v38, -0.5, v54, v40
	v_fmac_f16_e32 v12, -0.5, v63
	v_sub_f16_e32 v67, v84, v86
	v_sub_f16_e32 v29, v29, v30
	v_pack_b32_f16 v31, v31, v36
	v_add_f16_e32 v20, v37, v20
	v_add_f16_e32 v36, v42, v74
	;; [unrolled: 1-line block ×3, first 2 shown]
	v_fmac_f16_e32 v41, -0.5, v66
	v_add_f16_e32 v42, v68, v86
	v_fmac_f16_e32 v57, -0.5, v69
	v_fmamk_f16 v43, v39, 0x3aee, v32
	v_fmac_f16_e32 v32, 0xbaee, v39
	v_fmamk_f16 v39, v35, 0xbaee, v60
	v_fmac_f16_e32 v60, 0x3aee, v35
	v_add_f16_e32 v26, v44, v26
	v_add_f16_e32 v37, v49, v78
	v_fmamk_f16 v35, v48, 0x3aee, v33
	v_fmamk_f16 v44, v21, 0xbaee, v61
	v_fmac_f16_e32 v33, 0xbaee, v48
	v_fmac_f16_e32 v61, 0x3aee, v21
	v_add_f16_e32 v28, v53, v28
	v_add_f16_e32 v40, v62, v82
	v_fmamk_f16 v21, v56, 0x3aee, v38
	v_fmamk_f16 v45, v27, 0xbaee, v12
	v_fmac_f16_e32 v38, 0xbaee, v56
	v_fmac_f16_e32 v12, 0x3aee, v27
	v_fmamk_f16 v27, v67, 0x3aee, v41
	v_fmac_f16_e32 v41, 0xbaee, v67
	v_fmamk_f16 v48, v29, 0xbaee, v57
	v_fmac_f16_e32 v57, 0x3aee, v29
	v_pack_b32_f16 v20, v20, v36
	v_pack_b32_f16 v29, v30, v42
	;; [unrolled: 1-line block ×13, first 2 shown]
	ds_write2_b32 v19, v20, v30 offset1:22
	ds_write_b32 v19, v32 offset:176
	ds_write2_b32 v25, v26, v35 offset1:22
	ds_write_b32 v25, v33 offset:176
	;; [unrolled: 2-line block ×5, first 2 shown]
	v_mul_lo_u16 v8, 0x42, v59
	v_lshlrev_b32_sdwa v12, v55, v11 dst_sel:DWORD dst_unused:UNUSED_PAD src0_sel:DWORD src1_sel:BYTE_0
	s_waitcnt lgkmcnt(0)
	s_barrier
	buffer_gl0_inv
	v_sub_nc_u16 v33, v22, v8
	s_clause 0x1
	global_load_dwordx4 v[18:21], v[46:47], off offset:220
	global_load_dwordx4 v[25:28], v12, s[12:13] offset:220
	v_cndmask_b32_e64 v34, 0, 0x528, s0
	v_lshlrev_b32_sdwa v48, v24, v11 dst_sel:DWORD dst_unused:UNUSED_PAD src0_sel:DWORD src1_sel:BYTE_0
	v_lshlrev_b32_sdwa v8, v55, v33 dst_sel:DWORD dst_unused:UNUSED_PAD src0_sel:DWORD src1_sel:WORD_0
	v_lshlrev_b32_sdwa v49, v24, v33 dst_sel:DWORD dst_unused:UNUSED_PAD src0_sel:DWORD src1_sel:WORD_0
	v_mul_u32_u24_e32 v47, 0x528, v59
	v_add3_u32 v46, 0, v34, v9
	v_lshlrev_b32_e32 v9, 2, v23
	global_load_dwordx4 v[29:32], v8, s[12:13] offset:220
	v_mov_b32_e32 v12, 0x528
	v_mov_b32_e32 v8, v10
	v_lshlrev_b64 v[43:44], 2, v[9:10]
	v_lshlrev_b32_e32 v9, 2, v22
	v_mul_u32_u24_sdwa v45, v58, v12 dst_sel:DWORD dst_unused:UNUSED_PAD src0_sel:WORD_0 src1_sel:DWORD
	ds_read2_b32 v[11:12], v0 offset1:110
	ds_read2_b32 v[23:24], v14 offset0:92 offset1:202
	ds_read2_b32 v[33:34], v16 offset0:20 offset1:130
	;; [unrolled: 1-line block ×6, first 2 shown]
	ds_read_u16 v50, v0 offset:1762
	ds_read_b32 v51, v0 offset:6160
	v_lshlrev_b64 v[7:8], 2, v[7:8]
	s_waitcnt vmcnt(0) lgkmcnt(0)
	s_barrier
	v_add3_u32 v22, 0, v45, v48
	v_add3_u32 v45, 0, v47, v49
	buffer_gl0_inv
	v_add_co_u32 v7, s0, s12, v7
	v_add_co_ci_u32_e64 v8, s0, s13, v8, s0
	v_lshrrev_b32_e32 v47, 16, v11
	v_lshrrev_b32_e32 v58, 16, v24
	;; [unrolled: 1-line block ×14, first 2 shown]
	v_mul_f16_sdwa v63, v18, v58 dst_sel:DWORD dst_unused:UNUSED_PAD src0_sel:WORD_1 src1_sel:DWORD
	v_mul_f16_sdwa v64, v18, v24 dst_sel:DWORD dst_unused:UNUSED_PAD src0_sel:WORD_1 src1_sel:DWORD
	;; [unrolled: 1-line block ×8, first 2 shown]
	v_mul_f16_sdwa v71, v50, v25 dst_sel:DWORD dst_unused:UNUSED_PAD src0_sel:DWORD src1_sel:WORD_1
	v_mul_f16_sdwa v72, v25, v41 dst_sel:DWORD dst_unused:UNUSED_PAD src0_sel:WORD_1 src1_sel:DWORD
	v_mul_f16_sdwa v73, v49, v26 dst_sel:DWORD dst_unused:UNUSED_PAD src0_sel:DWORD src1_sel:WORD_1
	v_mul_f16_sdwa v74, v34, v26 dst_sel:DWORD dst_unused:UNUSED_PAD src0_sel:DWORD src1_sel:WORD_1
	;; [unrolled: 1-line block ×14, first 2 shown]
	v_fma_f16 v24, v18, v24, -v63
	v_fmac_f16_e32 v64, v18, v58
	v_fma_f16 v18, v19, v33, -v65
	v_fmac_f16_e32 v66, v19, v60
	;; [unrolled: 2-line block ×12, first 2 shown]
	v_add_f16_e32 v32, v11, v24
	v_add_f16_e32 v33, v18, v19
	;; [unrolled: 1-line block ×5, first 2 shown]
	v_sub_f16_e32 v36, v24, v18
	v_sub_f16_e32 v37, v20, v19
	v_add_f16_e32 v41, v47, v64
	v_add_f16_e32 v56, v12, v21
	;; [unrolled: 1-line block ×6, first 2 shown]
	v_sub_f16_e32 v34, v64, v70
	v_sub_f16_e32 v39, v18, v24
	;; [unrolled: 1-line block ×4, first 2 shown]
	v_add_f16_e32 v79, v23, v28
	v_add_f16_e32 v81, v29, v30
	;; [unrolled: 1-line block ×6, first 2 shown]
	v_fma_f16 v32, -0.5, v33, v11
	v_fma_f16 v11, -0.5, v38, v11
	;; [unrolled: 1-line block ×3, first 2 shown]
	v_sub_f16_e32 v35, v66, v68
	v_sub_f16_e32 v40, v19, v20
	;; [unrolled: 1-line block ×4, first 2 shown]
	v_add_f16_e32 v65, v48, v72
	v_fmac_f16_e32 v47, -0.5, v52
	v_sub_f16_e32 v53, v66, v64
	v_sub_f16_e32 v55, v68, v70
	;; [unrolled: 1-line block ×9, first 2 shown]
	v_add_f16_e32 v33, v36, v37
	v_add_f16_e32 v37, v41, v66
	;; [unrolled: 1-line block ×3, first 2 shown]
	v_fma_f16 v41, -0.5, v57, v12
	v_fma_f16 v52, -0.5, v67, v48
	v_sub_f16_e32 v59, v74, v76
	v_sub_f16_e32 v61, v27, v26
	;; [unrolled: 1-line block ×4, first 2 shown]
	v_add_f16_e32 v92, v54, v80
	v_fmac_f16_e32 v12, -0.5, v62
	v_fmac_f16_e32 v48, -0.5, v75
	v_sub_f16_e32 v83, v80, v86
	v_sub_f16_e32 v85, v82, v84
	;; [unrolled: 1-line block ×6, first 2 shown]
	v_add_f16_e32 v29, v79, v29
	v_fma_f16 v56, -0.5, v81, v23
	v_fmac_f16_e32 v23, -0.5, v89
	v_fma_f16 v62, -0.5, v93, v54
	v_fmac_f16_e32 v54, -0.5, v97
	v_add_f16_e32 v18, v18, v19
	v_fmamk_f16 v19, v34, 0x3b9c, v32
	v_fmamk_f16 v66, v24, 0xbb9c, v38
	v_add_f16_e32 v36, v39, v40
	v_add_f16_e32 v39, v50, v51
	;; [unrolled: 1-line block ×3, first 2 shown]
	v_fmamk_f16 v65, v35, 0xbb9c, v11
	v_fmac_f16_e32 v11, 0x3b9c, v35
	v_fmamk_f16 v67, v49, 0x3b9c, v47
	v_fmac_f16_e32 v47, 0xbb9c, v49
	v_fmac_f16_e32 v32, 0xbb9c, v34
	;; [unrolled: 1-line block ×3, first 2 shown]
	v_sub_f16_e32 v64, v26, v27
	v_add_f16_e32 v40, v53, v55
	v_add_f16_e32 v53, v71, v73
	;; [unrolled: 1-line block ×3, first 2 shown]
	v_fmamk_f16 v26, v58, 0x3b9c, v41
	v_fmamk_f16 v71, v21, 0xbb9c, v52
	v_add_f16_e32 v42, v60, v61
	v_add_f16_e32 v55, v72, v77
	;; [unrolled: 1-line block ×4, first 2 shown]
	v_fmamk_f16 v68, v59, 0xbb9c, v12
	v_fmac_f16_e32 v12, 0x3b9c, v59
	v_fmamk_f16 v72, v69, 0x3b9c, v48
	v_fmac_f16_e32 v48, 0xbb9c, v69
	v_sub_f16_e32 v88, v31, v30
	v_sub_f16_e32 v91, v30, v31
	;; [unrolled: 1-line block ×6, first 2 shown]
	v_fmac_f16_e32 v41, 0xbb9c, v58
	v_fmac_f16_e32 v52, 0x3b9c, v21
	v_add_f16_e32 v29, v29, v30
	v_fmamk_f16 v30, v83, 0x3b9c, v56
	v_fmac_f16_e32 v56, 0xbb9c, v83
	v_fmamk_f16 v73, v85, 0xbb9c, v23
	v_fmac_f16_e32 v23, 0x3b9c, v85
	;; [unrolled: 2-line block ×4, first 2 shown]
	v_fmac_f16_e32 v19, 0x38b4, v35
	v_fmac_f16_e32 v66, 0xb8b4, v49
	v_add_f16_e32 v51, v51, v76
	v_fmac_f16_e32 v65, 0x38b4, v34
	v_fmac_f16_e32 v11, 0xb8b4, v34
	;; [unrolled: 1-line block ×8, first 2 shown]
	v_add_f16_e32 v50, v63, v64
	v_add_f16_e32 v61, v61, v84
	v_fmac_f16_e32 v68, 0x38b4, v58
	v_fmac_f16_e32 v12, 0xb8b4, v58
	;; [unrolled: 1-line block ×4, first 2 shown]
	v_add_f16_e32 v57, v87, v88
	v_add_f16_e32 v60, v90, v91
	v_add_f16_e32 v63, v95, v96
	v_add_f16_e32 v64, v80, v98
	v_add_f16_e32 v18, v18, v20
	v_add_f16_e32 v20, v37, v70
	v_fmac_f16_e32 v41, 0xb8b4, v59
	v_fmac_f16_e32 v52, 0x38b4, v69
	;; [unrolled: 1-line block ×12, first 2 shown]
	v_add_f16_e32 v24, v25, v27
	v_add_f16_e32 v25, v51, v78
	v_fmac_f16_e32 v65, 0x34f2, v36
	v_fmac_f16_e32 v11, 0x34f2, v36
	;; [unrolled: 1-line block ×8, first 2 shown]
	v_add_f16_e32 v21, v29, v31
	v_add_f16_e32 v27, v61, v86
	v_fmac_f16_e32 v68, 0x34f2, v50
	v_fmac_f16_e32 v12, 0x34f2, v50
	;; [unrolled: 1-line block ×14, first 2 shown]
	v_pack_b32_f16 v18, v18, v20
	v_pack_b32_f16 v19, v19, v66
	;; [unrolled: 1-line block ×15, first 2 shown]
	ds_write2_b32 v46, v18, v19 offset1:66
	ds_write2_b32 v46, v24, v11 offset0:132 offset1:198
	ds_write_b32 v46, v25 offset:1056
	ds_write2_b32 v22, v20, v26 offset1:66
	ds_write2_b32 v22, v27, v12 offset0:132 offset1:198
	ds_write_b32 v22, v28 offset:1056
	;; [unrolled: 3-line block ×3, first 2 shown]
	s_waitcnt lgkmcnt(0)
	s_barrier
	buffer_gl0_inv
	global_load_dwordx4 v[18:21], v[7:8], off offset:1276
	v_add_co_u32 v7, s0, s12, v43
	v_lshlrev_b64 v[11:12], 2, v[9:10]
	v_add_co_ci_u32_e64 v8, s0, s13, v44, s0
	global_load_dwordx4 v[22:25], v[7:8], off offset:1276
	v_add_co_u32 v7, s0, s12, v11
	v_add_co_ci_u32_e64 v8, s0, s13, v12, s0
	global_load_dwordx4 v[26:29], v[7:8], off offset:1276
	ds_read2_b32 v[11:12], v0 offset1:110
	ds_read2_b32 v[30:31], v16 offset0:20 offset1:130
	ds_read2_b32 v[32:33], v4 offset0:76 offset1:186
	;; [unrolled: 1-line block ×6, first 2 shown]
	ds_read_b32 v9, v0 offset:6160
	ds_read_u16 v40, v0 offset:1762
	s_waitcnt vmcnt(0) lgkmcnt(0)
	s_barrier
	buffer_gl0_inv
	v_lshrrev_b32_e32 v41, 16, v11
	v_lshrrev_b32_e32 v43, 16, v31
	;; [unrolled: 1-line block ×14, first 2 shown]
	v_mul_f16_sdwa v55, v18, v50 dst_sel:DWORD dst_unused:UNUSED_PAD src0_sel:WORD_1 src1_sel:DWORD
	v_mul_f16_sdwa v56, v18, v8 dst_sel:DWORD dst_unused:UNUSED_PAD src0_sel:WORD_1 src1_sel:DWORD
	;; [unrolled: 1-line block ×8, first 2 shown]
	v_fma_f16 v8, v18, v8, -v55
	v_mul_f16_sdwa v63, v40, v22 dst_sel:DWORD dst_unused:UNUSED_PAD src0_sel:DWORD src1_sel:WORD_1
	v_mul_f16_sdwa v64, v22, v36 dst_sel:DWORD dst_unused:UNUSED_PAD src0_sel:WORD_1 src1_sel:DWORD
	v_mul_f16_sdwa v65, v43, v23 dst_sel:DWORD dst_unused:UNUSED_PAD src0_sel:DWORD src1_sel:WORD_1
	v_mul_f16_sdwa v66, v31, v23 dst_sel:DWORD dst_unused:UNUSED_PAD src0_sel:DWORD src1_sel:WORD_1
	v_mul_f16_sdwa v67, v44, v24 dst_sel:DWORD dst_unused:UNUSED_PAD src0_sel:DWORD src1_sel:WORD_1
	v_mul_f16_sdwa v68, v32, v24 dst_sel:DWORD dst_unused:UNUSED_PAD src0_sel:DWORD src1_sel:WORD_1
	v_mul_f16_sdwa v69, v45, v25 dst_sel:DWORD dst_unused:UNUSED_PAD src0_sel:DWORD src1_sel:WORD_1
	v_mul_f16_sdwa v70, v35, v25 dst_sel:DWORD dst_unused:UNUSED_PAD src0_sel:DWORD src1_sel:WORD_1
	v_mul_f16_sdwa v71, v47, v26 dst_sel:DWORD dst_unused:UNUSED_PAD src0_sel:DWORD src1_sel:WORD_1
	v_mul_f16_sdwa v72, v37, v26 dst_sel:DWORD dst_unused:UNUSED_PAD src0_sel:DWORD src1_sel:WORD_1
	v_mul_f16_sdwa v73, v48, v27 dst_sel:DWORD dst_unused:UNUSED_PAD src0_sel:DWORD src1_sel:WORD_1
	v_mul_f16_sdwa v74, v38, v27 dst_sel:DWORD dst_unused:UNUSED_PAD src0_sel:DWORD src1_sel:WORD_1
	v_mul_f16_sdwa v75, v49, v28 dst_sel:DWORD dst_unused:UNUSED_PAD src0_sel:DWORD src1_sel:WORD_1
	v_mul_f16_sdwa v76, v33, v28 dst_sel:DWORD dst_unused:UNUSED_PAD src0_sel:DWORD src1_sel:WORD_1
	v_mul_f16_sdwa v77, v51, v29 dst_sel:DWORD dst_unused:UNUSED_PAD src0_sel:DWORD src1_sel:WORD_1
	v_mul_f16_sdwa v78, v9, v29 dst_sel:DWORD dst_unused:UNUSED_PAD src0_sel:DWORD src1_sel:WORD_1
	v_fmac_f16_e32 v56, v18, v50
	v_fma_f16 v18, v19, v30, -v57
	v_fmac_f16_e32 v58, v19, v52
	v_fma_f16 v19, v20, v39, -v59
	;; [unrolled: 2-line block ×11, first 2 shown]
	v_fmac_f16_e32 v78, v51, v29
	v_add_f16_e32 v28, v11, v8
	v_add_f16_e32 v29, v18, v19
	v_sub_f16_e32 v32, v8, v18
	v_sub_f16_e32 v33, v20, v19
	v_add_f16_e32 v34, v8, v20
	v_sub_f16_e32 v35, v18, v8
	v_sub_f16_e32 v36, v19, v20
	v_add_f16_e32 v37, v41, v56
	v_add_f16_e32 v38, v58, v60
	v_sub_f16_e32 v40, v56, v58
	v_sub_f16_e32 v43, v62, v60
	v_add_f16_e32 v44, v56, v62
	v_add_f16_e32 v48, v12, v21
	;; [unrolled: 1-line block ×12, first 2 shown]
	v_sub_f16_e32 v31, v58, v60
	v_sub_f16_e32 v39, v18, v19
	v_sub_f16_e32 v45, v58, v56
	v_sub_f16_e32 v47, v60, v62
	v_sub_f16_e32 v50, v64, v70
	v_sub_f16_e32 v51, v66, v68
	v_sub_f16_e32 v52, v21, v22
	v_sub_f16_e32 v55, v22, v21
	v_sub_f16_e32 v61, v22, v23
	v_sub_f16_e32 v63, v64, v66
	v_sub_f16_e32 v64, v66, v64
	v_sub_f16_e32 v69, v68, v70
	v_add_f16_e32 v18, v28, v18
	v_fma_f16 v28, -0.5, v29, v11
	v_add_f16_e32 v29, v32, v33
	v_fma_f16 v11, -0.5, v34, v11
	v_add_f16_e32 v32, v35, v36
	v_add_f16_e32 v33, v37, v58
	v_fma_f16 v34, -0.5, v38, v41
	v_add_f16_e32 v35, v40, v43
	v_fmac_f16_e32 v41, -0.5, v44
	v_add_f16_e32 v22, v48, v22
	v_fma_f16 v37, -0.5, v49, v12
	v_fmac_f16_e32 v12, -0.5, v54
	v_add_f16_e32 v43, v57, v66
	v_fma_f16 v44, -0.5, v59, v42
	v_fmac_f16_e32 v42, -0.5, v67
	v_sub_f16_e32 v30, v56, v62
	v_sub_f16_e32 v8, v8, v20
	;; [unrolled: 1-line block ×5, first 2 shown]
	v_add_f16_e32 v84, v46, v72
	v_sub_f16_e32 v75, v72, v78
	v_sub_f16_e32 v79, v25, v26
	;; [unrolled: 1-line block ×5, first 2 shown]
	v_add_f16_e32 v26, v71, v26
	v_fma_f16 v48, -0.5, v73, v7
	v_fma_f16 v54, -0.5, v85, v46
	v_sub_f16_e32 v77, v74, v76
	v_fmac_f16_e32 v7, -0.5, v81
	v_fmac_f16_e32 v46, -0.5, v89
	v_sub_f16_e32 v56, v23, v24
	v_add_f16_e32 v36, v45, v47
	v_add_f16_e32 v47, v64, v69
	;; [unrolled: 1-line block ×3, first 2 shown]
	v_fmamk_f16 v57, v31, 0xbb9c, v11
	v_add_f16_e32 v33, v33, v60
	v_fmamk_f16 v59, v39, 0x3b9c, v41
	v_fmac_f16_e32 v41, 0xbb9c, v39
	v_add_f16_e32 v22, v22, v23
	v_fmamk_f16 v60, v51, 0xbb9c, v12
	v_add_f16_e32 v43, v43, v68
	v_fmamk_f16 v64, v61, 0x3b9c, v42
	v_add_f16_e32 v38, v52, v53
	v_add_f16_e32 v45, v63, v65
	;; [unrolled: 1-line block ×3, first 2 shown]
	v_fmamk_f16 v19, v30, 0x3b9c, v28
	v_fmac_f16_e32 v28, 0xbb9c, v30
	v_fmamk_f16 v58, v8, 0xbb9c, v34
	v_fmac_f16_e32 v34, 0x3b9c, v8
	;; [unrolled: 2-line block ×4, first 2 shown]
	v_sub_f16_e32 v80, v9, v27
	v_sub_f16_e32 v83, v27, v9
	;; [unrolled: 1-line block ×4, first 2 shown]
	v_add_f16_e32 v26, v26, v27
	v_fmamk_f16 v27, v75, 0x3b9c, v48
	v_fmamk_f16 v66, v25, 0xbb9c, v54
	v_sub_f16_e32 v72, v74, v72
	v_sub_f16_e32 v90, v76, v78
	v_fmac_f16_e32 v11, 0x3b9c, v31
	v_fmamk_f16 v65, v77, 0xbb9c, v7
	v_fmamk_f16 v67, v86, 0x3b9c, v46
	v_add_f16_e32 v40, v55, v56
	v_fmac_f16_e32 v12, 0x3b9c, v51
	v_fmac_f16_e32 v42, 0xbb9c, v61
	;; [unrolled: 1-line block ×6, first 2 shown]
	v_add_f16_e32 v18, v18, v20
	v_fmac_f16_e32 v57, 0x38b4, v30
	v_add_f16_e32 v20, v33, v62
	v_fmac_f16_e32 v59, 0xb8b4, v8
	v_fmac_f16_e32 v41, 0x38b4, v8
	v_add_f16_e32 v8, v22, v24
	v_fmac_f16_e32 v60, 0x38b4, v50
	v_add_f16_e32 v22, v43, v70
	;; [unrolled: 2-line block ×3, first 2 shown]
	v_fmac_f16_e32 v28, 0xb8b4, v31
	v_fmac_f16_e32 v34, 0x38b4, v39
	;; [unrolled: 1-line block ×6, first 2 shown]
	v_add_f16_e32 v49, v79, v80
	v_add_f16_e32 v55, v87, v88
	v_fmac_f16_e32 v23, 0x38b4, v51
	v_fmac_f16_e32 v63, 0xb8b4, v61
	;; [unrolled: 1-line block ×4, first 2 shown]
	v_add_f16_e32 v52, v82, v83
	v_add_f16_e32 v56, v72, v90
	v_fmac_f16_e32 v11, 0xb8b4, v30
	v_fmac_f16_e32 v65, 0x38b4, v75
	;; [unrolled: 1-line block ×13, first 2 shown]
	v_pack_b32_f16 v18, v18, v20
	v_pack_b32_f16 v8, v8, v22
	v_add_f16_e32 v9, v26, v9
	v_add_f16_e32 v21, v53, v78
	v_fmac_f16_e32 v28, 0x34f2, v29
	v_fmac_f16_e32 v34, 0x34f2, v35
	;; [unrolled: 1-line block ×20, first 2 shown]
	v_pack_b32_f16 v20, v57, v59
	ds_write2_b32 v0, v18, v8 offset1:110
	v_pack_b32_f16 v18, v60, v64
	v_pack_b32_f16 v9, v9, v21
	;; [unrolled: 1-line block ×12, first 2 shown]
	ds_write2_b32 v16, v20, v18 offset0:20 offset1:130
	ds_write2_b32 v17, v21, v22 offset0:40 offset1:150
	;; [unrolled: 1-line block ×6, first 2 shown]
	ds_write_b32 v0, v25 offset:6160
	s_waitcnt lgkmcnt(0)
	s_barrier
	buffer_gl0_inv
	s_and_saveexec_b32 s0, vcc_lo
	s_cbranch_execz .LBB0_29
; %bb.28:
	v_mul_lo_u32 v0, s3, v5
	v_mul_lo_u32 v4, s2, v6
	v_mad_u64_u32 v[5:6], null, s2, v5, 0
	v_lshl_add_u32 v17, v3, 2, 0
	v_add_nc_u32_e32 v9, 0x6e, v3
	ds_read2_b32 v[7:8], v17 offset1:110
	v_add3_u32 v6, v6, v4, v0
	v_mov_b32_e32 v4, v10
	v_lshlrev_b64 v[0:1], 2, v[1:2]
	v_lshlrev_b64 v[13:14], 2, v[9:10]
	v_add_nc_u32_e32 v9, 0xdc, v3
	v_lshlrev_b64 v[5:6], 2, v[5:6]
	v_lshlrev_b64 v[11:12], 2, v[3:4]
	v_add_co_u32 v2, vcc_lo, s10, v5
	v_add_co_ci_u32_e32 v4, vcc_lo, s11, v6, vcc_lo
	v_add_co_u32 v18, vcc_lo, v2, v0
	v_add_co_ci_u32_e32 v19, vcc_lo, v4, v1, vcc_lo
	v_add_nc_u32_e32 v2, 0x200, v17
	v_add_co_u32 v0, vcc_lo, v18, v11
	v_add_co_ci_u32_e32 v1, vcc_lo, v19, v12, vcc_lo
	v_add_co_u32 v4, vcc_lo, v18, v13
	ds_read2_b32 v[11:12], v2 offset0:92 offset1:202
	v_add_co_ci_u32_e32 v5, vcc_lo, v19, v14, vcc_lo
	v_lshlrev_b64 v[13:14], 2, v[9:10]
	v_add_nc_u32_e32 v9, 0x14a, v3
	s_waitcnt lgkmcnt(1)
	global_store_dword v[0:1], v7, off
	global_store_dword v[4:5], v8, off
	v_add_nc_u32_e32 v2, 0x600, v17
	v_add_nc_u32_e32 v8, 0xa00, v17
	v_lshlrev_b64 v[0:1], 2, v[9:10]
	v_add_co_u32 v4, vcc_lo, v18, v13
	v_add_co_ci_u32_e32 v5, vcc_lo, v19, v14, vcc_lo
	v_add_nc_u32_e32 v9, 0x1b8, v3
	v_add_co_u32 v0, vcc_lo, v18, v0
	v_add_co_ci_u32_e32 v1, vcc_lo, v19, v1, vcc_lo
	v_lshlrev_b64 v[6:7], 2, v[9:10]
	v_add_nc_u32_e32 v9, 0x226, v3
	s_waitcnt lgkmcnt(0)
	global_store_dword v[4:5], v11, off
	global_store_dword v[0:1], v12, off
	ds_read2_b32 v[0:1], v2 offset0:56 offset1:166
	ds_read2_b32 v[11:12], v8 offset0:20 offset1:130
	v_lshlrev_b64 v[4:5], 2, v[9:10]
	v_add_nc_u32_e32 v9, 0x294, v3
	v_add_co_u32 v6, vcc_lo, v18, v6
	v_add_co_ci_u32_e32 v7, vcc_lo, v19, v7, vcc_lo
	v_lshlrev_b64 v[13:14], 2, v[9:10]
	v_add_co_u32 v4, vcc_lo, v18, v4
	v_add_co_ci_u32_e32 v5, vcc_lo, v19, v5, vcc_lo
	v_add_nc_u32_e32 v9, 0x302, v3
	v_add_co_u32 v13, vcc_lo, v18, v13
	v_add_nc_u32_e32 v2, 0xc00, v17
	v_add_co_ci_u32_e32 v14, vcc_lo, v19, v14, vcc_lo
	v_lshlrev_b64 v[15:16], 2, v[9:10]
	v_add_nc_u32_e32 v9, 0x370, v3
	s_waitcnt lgkmcnt(1)
	global_store_dword v[6:7], v0, off
	global_store_dword v[4:5], v1, off
	s_waitcnt lgkmcnt(0)
	global_store_dword v[13:14], v11, off
	ds_read2_b32 v[0:1], v2 offset0:112 offset1:222
	v_add_nc_u32_e32 v2, 0x1000, v17
	v_lshlrev_b64 v[4:5], 2, v[9:10]
	v_add_nc_u32_e32 v9, 0x3de, v3
	v_add_co_u32 v6, vcc_lo, v18, v15
	v_add_co_ci_u32_e32 v7, vcc_lo, v19, v16, vcc_lo
	v_lshlrev_b64 v[13:14], 2, v[9:10]
	v_add_nc_u32_e32 v9, 0x44c, v3
	v_add_co_u32 v4, vcc_lo, v18, v4
	v_add_co_ci_u32_e32 v5, vcc_lo, v19, v5, vcc_lo
	v_add_co_u32 v13, vcc_lo, v18, v13
	v_lshlrev_b64 v[15:16], 2, v[9:10]
	v_add_nc_u32_e32 v9, 0x4ba, v3
	v_add_co_ci_u32_e32 v14, vcc_lo, v19, v14, vcc_lo
	global_store_dword v[6:7], v12, off
	s_waitcnt lgkmcnt(0)
	global_store_dword v[4:5], v0, off
	global_store_dword v[13:14], v1, off
	v_lshlrev_b64 v[4:5], 2, v[9:10]
	v_add_nc_u32_e32 v9, 0x528, v3
	ds_read2_b32 v[0:1], v2 offset0:76 offset1:186
	v_add_nc_u32_e32 v2, 0x1400, v17
	v_add_co_u32 v6, vcc_lo, v18, v15
	v_lshlrev_b64 v[13:14], 2, v[9:10]
	v_add_nc_u32_e32 v9, 0x596, v3
	ds_read2_b32 v[11:12], v2 offset0:40 offset1:150
	ds_read_b32 v17, v17 offset:6160
	v_add_co_ci_u32_e32 v7, vcc_lo, v19, v16, vcc_lo
	v_lshlrev_b64 v[15:16], 2, v[9:10]
	v_add_nc_u32_e32 v9, 0x604, v3
	v_add_co_u32 v4, vcc_lo, v18, v4
	v_add_co_ci_u32_e32 v5, vcc_lo, v19, v5, vcc_lo
	v_add_co_u32 v2, vcc_lo, v18, v13
	v_lshlrev_b64 v[8:9], 2, v[9:10]
	v_add_co_ci_u32_e32 v3, vcc_lo, v19, v14, vcc_lo
	v_add_co_u32 v13, vcc_lo, v18, v15
	v_add_co_ci_u32_e32 v14, vcc_lo, v19, v16, vcc_lo
	v_add_co_u32 v8, vcc_lo, v18, v8
	v_add_co_ci_u32_e32 v9, vcc_lo, v19, v9, vcc_lo
	s_waitcnt lgkmcnt(2)
	global_store_dword v[6:7], v0, off
	global_store_dword v[4:5], v1, off
	s_waitcnt lgkmcnt(1)
	global_store_dword v[2:3], v11, off
	global_store_dword v[13:14], v12, off
	s_waitcnt lgkmcnt(0)
	global_store_dword v[8:9], v17, off
.LBB0_29:
	s_endpgm
	.section	.rodata,"a",@progbits
	.p2align	6, 0x0
	.amdhsa_kernel fft_rtc_fwd_len1650_factors_11_2_3_5_5_wgs_110_tpt_110_halfLds_half_op_CI_CI_unitstride_sbrr_C2R_dirReg
		.amdhsa_group_segment_fixed_size 0
		.amdhsa_private_segment_fixed_size 0
		.amdhsa_kernarg_size 104
		.amdhsa_user_sgpr_count 6
		.amdhsa_user_sgpr_private_segment_buffer 1
		.amdhsa_user_sgpr_dispatch_ptr 0
		.amdhsa_user_sgpr_queue_ptr 0
		.amdhsa_user_sgpr_kernarg_segment_ptr 1
		.amdhsa_user_sgpr_dispatch_id 0
		.amdhsa_user_sgpr_flat_scratch_init 0
		.amdhsa_user_sgpr_private_segment_size 0
		.amdhsa_wavefront_size32 1
		.amdhsa_uses_dynamic_stack 0
		.amdhsa_system_sgpr_private_segment_wavefront_offset 0
		.amdhsa_system_sgpr_workgroup_id_x 1
		.amdhsa_system_sgpr_workgroup_id_y 0
		.amdhsa_system_sgpr_workgroup_id_z 0
		.amdhsa_system_sgpr_workgroup_info 0
		.amdhsa_system_vgpr_workitem_id 0
		.amdhsa_next_free_vgpr 110
		.amdhsa_next_free_sgpr 27
		.amdhsa_reserve_vcc 1
		.amdhsa_reserve_flat_scratch 0
		.amdhsa_float_round_mode_32 0
		.amdhsa_float_round_mode_16_64 0
		.amdhsa_float_denorm_mode_32 3
		.amdhsa_float_denorm_mode_16_64 3
		.amdhsa_dx10_clamp 1
		.amdhsa_ieee_mode 1
		.amdhsa_fp16_overflow 0
		.amdhsa_workgroup_processor_mode 1
		.amdhsa_memory_ordered 1
		.amdhsa_forward_progress 0
		.amdhsa_shared_vgpr_count 0
		.amdhsa_exception_fp_ieee_invalid_op 0
		.amdhsa_exception_fp_denorm_src 0
		.amdhsa_exception_fp_ieee_div_zero 0
		.amdhsa_exception_fp_ieee_overflow 0
		.amdhsa_exception_fp_ieee_underflow 0
		.amdhsa_exception_fp_ieee_inexact 0
		.amdhsa_exception_int_div_zero 0
	.end_amdhsa_kernel
	.text
.Lfunc_end0:
	.size	fft_rtc_fwd_len1650_factors_11_2_3_5_5_wgs_110_tpt_110_halfLds_half_op_CI_CI_unitstride_sbrr_C2R_dirReg, .Lfunc_end0-fft_rtc_fwd_len1650_factors_11_2_3_5_5_wgs_110_tpt_110_halfLds_half_op_CI_CI_unitstride_sbrr_C2R_dirReg
                                        ; -- End function
	.section	.AMDGPU.csdata,"",@progbits
; Kernel info:
; codeLenInByte = 15188
; NumSgprs: 29
; NumVgprs: 110
; ScratchSize: 0
; MemoryBound: 0
; FloatMode: 240
; IeeeMode: 1
; LDSByteSize: 0 bytes/workgroup (compile time only)
; SGPRBlocks: 3
; VGPRBlocks: 13
; NumSGPRsForWavesPerEU: 29
; NumVGPRsForWavesPerEU: 110
; Occupancy: 9
; WaveLimiterHint : 1
; COMPUTE_PGM_RSRC2:SCRATCH_EN: 0
; COMPUTE_PGM_RSRC2:USER_SGPR: 6
; COMPUTE_PGM_RSRC2:TRAP_HANDLER: 0
; COMPUTE_PGM_RSRC2:TGID_X_EN: 1
; COMPUTE_PGM_RSRC2:TGID_Y_EN: 0
; COMPUTE_PGM_RSRC2:TGID_Z_EN: 0
; COMPUTE_PGM_RSRC2:TIDIG_COMP_CNT: 0
	.text
	.p2alignl 6, 3214868480
	.fill 48, 4, 3214868480
	.type	__hip_cuid_b6f59e56d2c8c183,@object ; @__hip_cuid_b6f59e56d2c8c183
	.section	.bss,"aw",@nobits
	.globl	__hip_cuid_b6f59e56d2c8c183
__hip_cuid_b6f59e56d2c8c183:
	.byte	0                               ; 0x0
	.size	__hip_cuid_b6f59e56d2c8c183, 1

	.ident	"AMD clang version 19.0.0git (https://github.com/RadeonOpenCompute/llvm-project roc-6.4.0 25133 c7fe45cf4b819c5991fe208aaa96edf142730f1d)"
	.section	".note.GNU-stack","",@progbits
	.addrsig
	.addrsig_sym __hip_cuid_b6f59e56d2c8c183
	.amdgpu_metadata
---
amdhsa.kernels:
  - .args:
      - .actual_access:  read_only
        .address_space:  global
        .offset:         0
        .size:           8
        .value_kind:     global_buffer
      - .offset:         8
        .size:           8
        .value_kind:     by_value
      - .actual_access:  read_only
        .address_space:  global
        .offset:         16
        .size:           8
        .value_kind:     global_buffer
      - .actual_access:  read_only
        .address_space:  global
        .offset:         24
        .size:           8
        .value_kind:     global_buffer
      - .actual_access:  read_only
        .address_space:  global
        .offset:         32
        .size:           8
        .value_kind:     global_buffer
      - .offset:         40
        .size:           8
        .value_kind:     by_value
      - .actual_access:  read_only
        .address_space:  global
        .offset:         48
        .size:           8
        .value_kind:     global_buffer
      - .actual_access:  read_only
        .address_space:  global
        .offset:         56
        .size:           8
        .value_kind:     global_buffer
      - .offset:         64
        .size:           4
        .value_kind:     by_value
      - .actual_access:  read_only
        .address_space:  global
        .offset:         72
        .size:           8
        .value_kind:     global_buffer
      - .actual_access:  read_only
        .address_space:  global
        .offset:         80
        .size:           8
        .value_kind:     global_buffer
      - .actual_access:  read_only
        .address_space:  global
        .offset:         88
        .size:           8
        .value_kind:     global_buffer
      - .actual_access:  write_only
        .address_space:  global
        .offset:         96
        .size:           8
        .value_kind:     global_buffer
    .group_segment_fixed_size: 0
    .kernarg_segment_align: 8
    .kernarg_segment_size: 104
    .language:       OpenCL C
    .language_version:
      - 2
      - 0
    .max_flat_workgroup_size: 110
    .name:           fft_rtc_fwd_len1650_factors_11_2_3_5_5_wgs_110_tpt_110_halfLds_half_op_CI_CI_unitstride_sbrr_C2R_dirReg
    .private_segment_fixed_size: 0
    .sgpr_count:     29
    .sgpr_spill_count: 0
    .symbol:         fft_rtc_fwd_len1650_factors_11_2_3_5_5_wgs_110_tpt_110_halfLds_half_op_CI_CI_unitstride_sbrr_C2R_dirReg.kd
    .uniform_work_group_size: 1
    .uses_dynamic_stack: false
    .vgpr_count:     110
    .vgpr_spill_count: 0
    .wavefront_size: 32
    .workgroup_processor_mode: 1
amdhsa.target:   amdgcn-amd-amdhsa--gfx1030
amdhsa.version:
  - 1
  - 2
...

	.end_amdgpu_metadata
